;; amdgpu-corpus repo=ROCm/rocFFT kind=compiled arch=gfx1030 opt=O3
	.text
	.amdgcn_target "amdgcn-amd-amdhsa--gfx1030"
	.amdhsa_code_object_version 6
	.protected	bluestein_single_back_len686_dim1_half_op_CI_CI ; -- Begin function bluestein_single_back_len686_dim1_half_op_CI_CI
	.globl	bluestein_single_back_len686_dim1_half_op_CI_CI
	.p2align	8
	.type	bluestein_single_back_len686_dim1_half_op_CI_CI,@function
bluestein_single_back_len686_dim1_half_op_CI_CI: ; @bluestein_single_back_len686_dim1_half_op_CI_CI
; %bb.0:
	s_load_dwordx4 s[16:19], s[4:5], 0x28
	v_mul_u32_u24_e32 v1, 0x53a, v0
	v_mov_b32_e32 v13, 0
	s_mov_b32 s0, exec_lo
	v_lshrrev_b32_e32 v1, 16, v1
	v_add_nc_u32_e32 v12, s6, v1
	s_waitcnt lgkmcnt(0)
	v_cmpx_gt_u64_e64 s[16:17], v[12:13]
	s_cbranch_execz .LBB0_2
; %bb.1:
	s_clause 0x1
	s_load_dwordx4 s[8:11], s[4:5], 0x18
	s_load_dwordx4 s[0:3], s[4:5], 0x0
	v_mul_lo_u16 v1, v1, 49
	s_mov_b32 s26, 0x515a4f1d
	s_mov_b32 s27, 0x3f57e225
	v_sub_nc_u16 v0, v0, v1
	v_and_b32_e32 v49, 0xffff, v0
	v_lshlrev_b32_e32 v40, 2, v49
	v_add_co_u32 v18, null, v49, 49
	s_waitcnt lgkmcnt(0)
	s_load_dwordx4 s[12:15], s[8:9], 0x0
	s_clause 0x5
	global_load_dword v37, v40, s[0:1]
	global_load_dword v38, v40, s[0:1] offset:392
	global_load_dword v39, v40, s[0:1] offset:784
	global_load_dword v41, v40, s[0:1] offset:1176
	global_load_dword v42, v40, s[0:1] offset:1568
	global_load_dword v43, v40, s[0:1] offset:1960
	v_add_nc_u32_e32 v46, 0x400, v40
	v_add_nc_u32_e32 v48, 0x800, v40
	;; [unrolled: 1-line block ×3, first 2 shown]
	s_waitcnt lgkmcnt(0)
	v_mad_u64_u32 v[1:2], null, s14, v12, 0
	v_mad_u64_u32 v[3:4], null, s12, v49, 0
	s_mul_i32 s6, s13, 0x188
	s_mul_hi_u32 s7, s12, 0x188
	s_mul_i32 s8, s12, 0x188
	s_add_i32 s7, s7, s6
	v_add_co_u32 v23, s6, s0, v40
	v_mad_u64_u32 v[5:6], null, s15, v12, v[2:3]
	v_add_co_ci_u32_e64 v24, null, s1, 0, s6
	s_mul_i32 s6, s13, 0xfffff794
	s_sub_i32 s6, s6, s12
	v_mad_u64_u32 v[6:7], null, s13, v49, v[4:5]
	v_mov_b32_e32 v2, v5
	v_lshlrev_b64 v[1:2], 2, v[1:2]
	v_mov_b32_e32 v4, v6
	v_add_co_u32 v1, vcc_lo, s18, v1
	v_lshlrev_b64 v[3:4], 2, v[3:4]
	v_add_co_ci_u32_e32 v2, vcc_lo, s19, v2, vcc_lo
	v_add_co_u32 v1, vcc_lo, v1, v3
	v_add_co_ci_u32_e32 v2, vcc_lo, v2, v4, vcc_lo
	v_add_co_u32 v3, vcc_lo, v1, s8
	v_add_co_ci_u32_e32 v4, vcc_lo, s7, v2, vcc_lo
	s_clause 0x1
	global_load_dword v5, v[1:2], off
	global_load_dword v6, v[3:4], off
	v_add_co_u32 v1, vcc_lo, v3, s8
	v_add_co_ci_u32_e32 v2, vcc_lo, s7, v4, vcc_lo
	v_add_co_u32 v3, vcc_lo, v1, s8
	v_add_co_ci_u32_e32 v4, vcc_lo, s7, v2, vcc_lo
	s_clause 0x1
	global_load_dword v7, v[1:2], off
	global_load_dword v8, v[3:4], off
	v_add_co_u32 v1, vcc_lo, v3, s8
	v_add_co_ci_u32_e32 v2, vcc_lo, s7, v4, vcc_lo
	v_add_co_u32 v3, vcc_lo, v1, s8
	v_add_co_ci_u32_e32 v4, vcc_lo, s7, v2, vcc_lo
	global_load_dword v9, v[1:2], off
	v_add_co_u32 v1, vcc_lo, v3, s8
	v_add_co_ci_u32_e32 v2, vcc_lo, s7, v4, vcc_lo
	s_clause 0x1
	global_load_dword v34, v40, s[0:1] offset:1372
	global_load_dword v35, v40, s[0:1] offset:980
	global_load_dword v10, v[3:4], off
	v_add_co_u32 v19, vcc_lo, 0x800, v23
	v_mad_u64_u32 v[3:4], null, 0xfffff794, s12, v[1:2]
	v_add_co_ci_u32_e32 v20, vcc_lo, 0, v24, vcc_lo
	global_load_dword v11, v[1:2], off
	s_clause 0x2
	global_load_dword v36, v40, s[0:1] offset:588
	global_load_dword v44, v40, s[0:1] offset:196
	global_load_dword v45, v[19:20], off offset:304
	v_add_nc_u32_e32 v4, s6, v4
	v_add_co_u32 v1, vcc_lo, v3, s8
	v_add_co_ci_u32_e32 v2, vcc_lo, s7, v4, vcc_lo
	global_load_dword v13, v[3:4], off
	v_add_co_u32 v3, vcc_lo, v1, s8
	v_add_co_ci_u32_e32 v4, vcc_lo, s7, v2, vcc_lo
	global_load_dword v14, v[1:2], off
	global_load_dword v15, v[3:4], off
	v_add_co_u32 v1, vcc_lo, v3, s8
	v_add_co_ci_u32_e32 v2, vcc_lo, s7, v4, vcc_lo
	global_load_dword v33, v40, s[0:1] offset:1764
	v_add_co_u32 v3, vcc_lo, v1, s8
	v_add_co_ci_u32_e32 v4, vcc_lo, s7, v2, vcc_lo
	global_load_dword v16, v[1:2], off
	v_add_co_u32 v1, vcc_lo, v3, s8
	v_add_co_ci_u32_e32 v2, vcc_lo, s7, v4, vcc_lo
	global_load_dword v17, v[3:4], off
	;; [unrolled: 3-line block ×3, first 2 shown]
	global_load_dword v2, v[3:4], off
	s_clause 0x1
	global_load_dword v31, v[19:20], off offset:500
	global_load_dword v32, v[19:20], off offset:108
	v_and_b32_e32 v3, 0xff, v0
	v_and_b32_e32 v4, 0xff, v18
	s_load_dwordx4 s[28:31], s[10:11], 0x0
	s_load_dwordx2 s[0:1], s[4:5], 0x38
	v_mul_lo_u16 v3, v3, 37
	v_mul_lo_u16 v4, v4, 37
	v_lshrrev_b16 v3, 8, v3
	v_lshrrev_b16 v4, 8, v4
	v_sub_nc_u16 v21, v0, v3
	v_sub_nc_u16 v22, v18, v4
	v_lshrrev_b16 v21, 1, v21
	v_lshrrev_b16 v22, 1, v22
	v_and_b32_e32 v21, 0x7f, v21
	v_and_b32_e32 v22, 0x7f, v22
	v_add_nc_u16 v3, v21, v3
	v_add_nc_u16 v4, v22, v4
	v_lshrrev_b16 v21, 2, v3
	v_lshrrev_b16 v22, 2, v4
	v_mul_lo_u16 v3, v21, 7
	v_mul_lo_u16 v25, v22, 7
	v_sub_nc_u16 v26, v0, v3
	v_sub_nc_u16 v25, v18, v25
	v_mul_lo_u16 v0, v0, 7
	s_waitcnt vmcnt(21)
	v_lshrrev_b32_e32 v4, 16, v5
	v_mul_f16_sdwa v3, v37, v5 dst_sel:DWORD dst_unused:UNUSED_PAD src0_sel:WORD_1 src1_sel:DWORD
	s_waitcnt vmcnt(20)
	v_lshrrev_b32_e32 v28, 16, v6
	v_mul_f16_sdwa v29, v38, v6 dst_sel:DWORD dst_unused:UNUSED_PAD src0_sel:WORD_1 src1_sel:DWORD
	v_mul_f16_sdwa v27, v37, v4 dst_sel:DWORD dst_unused:UNUSED_PAD src0_sel:WORD_1 src1_sel:DWORD
	v_fma_f16 v3, v37, v4, -v3
	v_mul_f16_sdwa v4, v38, v28 dst_sel:DWORD dst_unused:UNUSED_PAD src0_sel:WORD_1 src1_sel:DWORD
	v_fma_f16 v28, v38, v28, -v29
	v_fmac_f16_e32 v27, v37, v5
	s_waitcnt vmcnt(19)
	v_lshrrev_b32_e32 v5, 16, v7
	v_mul_f16_sdwa v29, v39, v7 dst_sel:DWORD dst_unused:UNUSED_PAD src0_sel:WORD_1 src1_sel:DWORD
	v_pack_b32_f16 v3, v27, v3
	v_fmac_f16_e32 v4, v38, v6
	s_waitcnt vmcnt(18)
	v_lshrrev_b32_e32 v27, 16, v8
	v_mul_f16_sdwa v6, v39, v5 dst_sel:DWORD dst_unused:UNUSED_PAD src0_sel:WORD_1 src1_sel:DWORD
	v_mul_f16_sdwa v30, v41, v8 dst_sel:DWORD dst_unused:UNUSED_PAD src0_sel:WORD_1 src1_sel:DWORD
	v_fma_f16 v5, v39, v5, -v29
	v_pack_b32_f16 v4, v4, v28
	v_fmac_f16_e32 v6, v39, v7
	v_mul_f16_sdwa v7, v41, v27 dst_sel:DWORD dst_unused:UNUSED_PAD src0_sel:WORD_1 src1_sel:DWORD
	v_fma_f16 v27, v41, v27, -v30
	s_waitcnt vmcnt(17)
	v_lshrrev_b32_e32 v28, 16, v9
	v_mul_f16_sdwa v29, v42, v9 dst_sel:DWORD dst_unused:UNUSED_PAD src0_sel:WORD_1 src1_sel:DWORD
	ds_write_b32 v40, v4 offset:392
	v_pack_b32_f16 v4, v6, v5
	v_fmac_f16_e32 v7, v41, v8
	s_waitcnt vmcnt(14)
	v_lshrrev_b32_e32 v6, 16, v10
	v_mul_f16_sdwa v5, v42, v28 dst_sel:DWORD dst_unused:UNUSED_PAD src0_sel:WORD_1 src1_sel:DWORD
	v_fma_f16 v8, v42, v28, -v29
	v_mul_f16_sdwa v28, v43, v10 dst_sel:DWORD dst_unused:UNUSED_PAD src0_sel:WORD_1 src1_sel:DWORD
	ds_write_b32 v40, v4 offset:784
	v_pack_b32_f16 v4, v7, v27
	v_mul_f16_sdwa v7, v43, v6 dst_sel:DWORD dst_unused:UNUSED_PAD src0_sel:WORD_1 src1_sel:DWORD
	s_waitcnt vmcnt(13)
	v_lshrrev_b32_e32 v27, 16, v11
	v_fmac_f16_e32 v5, v42, v9
	v_fma_f16 v6, v43, v6, -v28
	s_waitcnt vmcnt(10)
	v_mul_f16_sdwa v9, v45, v11 dst_sel:DWORD dst_unused:UNUSED_PAD src0_sel:WORD_1 src1_sel:DWORD
	v_fmac_f16_e32 v7, v43, v10
	v_mul_f16_sdwa v10, v45, v27 dst_sel:DWORD dst_unused:UNUSED_PAD src0_sel:WORD_1 src1_sel:DWORD
	ds_write_b32 v40, v4 offset:1176
	v_pack_b32_f16 v4, v5, v8
	v_fma_f16 v5, v45, v27, -v9
	v_pack_b32_f16 v6, v7, v6
	v_fmac_f16_e32 v10, v45, v11
	s_waitcnt vmcnt(9)
	v_lshrrev_b32_e32 v7, 16, v13
	ds_write_b32 v40, v4 offset:1568
	v_mul_f16_sdwa v4, v44, v13 dst_sel:DWORD dst_unused:UNUSED_PAD src0_sel:WORD_1 src1_sel:DWORD
	ds_write_b32 v40, v6 offset:1960
	v_pack_b32_f16 v5, v10, v5
	v_mul_f16_sdwa v6, v44, v7 dst_sel:DWORD dst_unused:UNUSED_PAD src0_sel:WORD_1 src1_sel:DWORD
	s_waitcnt vmcnt(8)
	v_lshrrev_b32_e32 v8, 16, v14
	v_fma_f16 v4, v44, v7, -v4
	v_mul_f16_sdwa v7, v36, v14 dst_sel:DWORD dst_unused:UNUSED_PAD src0_sel:WORD_1 src1_sel:DWORD
	ds_write_b32 v40, v5 offset:2352
	v_fmac_f16_e32 v6, v44, v13
	v_mul_f16_sdwa v5, v36, v8 dst_sel:DWORD dst_unused:UNUSED_PAD src0_sel:WORD_1 src1_sel:DWORD
	s_waitcnt vmcnt(7)
	v_lshrrev_b32_e32 v9, 16, v15
	v_mul_f16_sdwa v10, v35, v15 dst_sel:DWORD dst_unused:UNUSED_PAD src0_sel:WORD_1 src1_sel:DWORD
	v_fma_f16 v7, v36, v8, -v7
	v_pack_b32_f16 v4, v6, v4
	v_fmac_f16_e32 v5, v36, v14
	v_mul_f16_sdwa v6, v35, v9 dst_sel:DWORD dst_unused:UNUSED_PAD src0_sel:WORD_1 src1_sel:DWORD
	v_fma_f16 v8, v35, v9, -v10
	s_waitcnt vmcnt(5)
	v_lshrrev_b32_e32 v9, 16, v16
	v_mul_f16_sdwa v10, v34, v16 dst_sel:DWORD dst_unused:UNUSED_PAD src0_sel:WORD_1 src1_sel:DWORD
	ds_write2_b32 v40, v3, v4 offset1:49
	v_pack_b32_f16 v3, v5, v7
	s_waitcnt vmcnt(4)
	v_lshrrev_b32_e32 v7, 16, v17
	v_mul_f16_sdwa v4, v34, v9 dst_sel:DWORD dst_unused:UNUSED_PAD src0_sel:WORD_1 src1_sel:DWORD
	v_fma_f16 v5, v34, v9, -v10
	v_mul_f16_sdwa v9, v33, v17 dst_sel:DWORD dst_unused:UNUSED_PAD src0_sel:WORD_1 src1_sel:DWORD
	ds_write_b32 v40, v3 offset:588
	s_waitcnt vmcnt(3)
	v_lshrrev_b32_e32 v3, 16, v1
	s_waitcnt vmcnt(2)
	v_lshrrev_b32_e32 v11, 16, v2
	v_mul_f16_sdwa v10, v33, v7 dst_sel:DWORD dst_unused:UNUSED_PAD src0_sel:WORD_1 src1_sel:DWORD
	v_fma_f16 v7, v33, v7, -v9
	s_waitcnt vmcnt(0)
	v_mul_f16_sdwa v9, v32, v1 dst_sel:DWORD dst_unused:UNUSED_PAD src0_sel:WORD_1 src1_sel:DWORD
	v_mul_f16_sdwa v13, v32, v3 dst_sel:DWORD dst_unused:UNUSED_PAD src0_sel:WORD_1 src1_sel:DWORD
	v_fmac_f16_e32 v6, v35, v15
	v_mul_f16_sdwa v14, v31, v2 dst_sel:DWORD dst_unused:UNUSED_PAD src0_sel:WORD_1 src1_sel:DWORD
	v_mul_f16_sdwa v15, v31, v11 dst_sel:DWORD dst_unused:UNUSED_PAD src0_sel:WORD_1 src1_sel:DWORD
	v_fmac_f16_e32 v4, v34, v16
	v_fmac_f16_e32 v10, v33, v17
	v_fma_f16 v3, v32, v3, -v9
	v_fmac_f16_e32 v13, v32, v1
	v_fma_f16 v1, v31, v11, -v14
	v_fmac_f16_e32 v15, v31, v2
	v_pack_b32_f16 v2, v6, v8
	v_pack_b32_f16 v4, v4, v5
	;; [unrolled: 1-line block ×5, first 2 shown]
	ds_write_b32 v40, v2 offset:980
	ds_write_b32 v40, v4 offset:1372
	;; [unrolled: 1-line block ×5, first 2 shown]
	s_waitcnt lgkmcnt(0)
	s_barrier
	buffer_gl0_inv
	ds_read2_b32 v[1:2], v40 offset0:98 offset1:147
	ds_read2_b32 v[3:4], v40 offset0:196 offset1:245
	ds_read2_b32 v[5:6], v46 offset0:38 offset1:87
	ds_read2_b32 v[10:11], v48 offset0:76 offset1:125
	ds_read2_b32 v[13:14], v47 offset0:106 offset1:155
	ds_read2_b32 v[15:16], v46 offset0:136 offset1:185
	v_and_b32_e32 v8, 0xff, v26
	v_mul_u32_u24_e32 v17, 7, v18
	v_and_b32_e32 v9, 0xff, v25
	v_mov_b32_e32 v7, 2
	v_mul_u32_u24_e32 v18, 6, v8
	v_lshlrev_b32_e32 v25, 2, v17
	v_mul_u32_u24_e32 v27, 6, v9
	v_lshlrev_b32_sdwa v26, v7, v0 dst_sel:DWORD dst_unused:UNUSED_PAD src0_sel:DWORD src1_sel:WORD_0
	v_lshlrev_b32_e32 v28, 2, v18
	ds_read2_b32 v[17:18], v40 offset1:49
	v_lshlrev_b32_e32 v27, 2, v27
	s_waitcnt lgkmcnt(0)
	s_barrier
	buffer_gl0_inv
	v_pk_add_f16 v0, v2, v11
	v_pk_add_f16 v7, v4, v14
	;; [unrolled: 1-line block ×5, first 2 shown]
	v_pk_add_f16 v1, v1, v10 neg_lo:[0,1] neg_hi:[0,1]
	v_pk_add_f16 v3, v3, v13 neg_lo:[0,1] neg_hi:[0,1]
	;; [unrolled: 1-line block ×3, first 2 shown]
	v_pk_add_f16 v29, v6, v16
	v_pk_add_f16 v2, v2, v11 neg_lo:[0,1] neg_hi:[0,1]
	v_pk_add_f16 v4, v4, v14 neg_lo:[0,1] neg_hi:[0,1]
	;; [unrolled: 1-line block ×3, first 2 shown]
	v_pk_add_f16 v10, v7, v0
	v_pk_add_f16 v11, v50, v30
	v_pk_add_f16 v13, v50, v30 neg_lo:[0,1] neg_hi:[0,1]
	v_pk_add_f16 v14, v30, v51 neg_lo:[0,1] neg_hi:[0,1]
	v_pk_add_f16 v15, v5, v3
	v_pk_add_f16 v16, v1, v5 neg_lo:[0,1] neg_hi:[0,1]
	v_pk_add_f16 v30, v3, v1 neg_lo:[0,1] neg_hi:[0,1]
	;; [unrolled: 1-line block ×5, first 2 shown]
	v_pk_add_f16 v52, v6, v4
	v_pk_add_f16 v53, v2, v6 neg_lo:[0,1] neg_hi:[0,1]
	v_pk_add_f16 v54, v4, v2 neg_lo:[0,1] neg_hi:[0,1]
	;; [unrolled: 1-line block ×3, first 2 shown]
	v_pk_add_f16 v6, v29, v10
	v_pk_add_f16 v10, v51, v11
	;; [unrolled: 1-line block ×3, first 2 shown]
	v_pk_mul_f16 v11, 0x3a52, v14 op_sel_hi:[0,1]
	v_pk_mul_f16 v14, 0x3574, v16 op_sel_hi:[0,1]
	;; [unrolled: 1-line block ×3, first 2 shown]
	v_pk_add_f16 v50, v51, v50 neg_lo:[0,1] neg_hi:[0,1]
	v_pk_add_f16 v7, v29, v7 neg_lo:[0,1] neg_hi:[0,1]
	v_pk_mul_f16 v13, 0x39e0, v13 op_sel_hi:[0,1]
	v_pk_mul_f16 v0, 0x3a52, v0 op_sel_hi:[0,1]
	;; [unrolled: 1-line block ×5, first 2 shown]
	v_pk_add_f16 v17, v17, v10
	v_pk_add_f16 v18, v18, v6
	v_pk_fma_f16 v16, 0x3574, v16, v15 op_sel_hi:[0,1,1] neg_lo:[0,1,1] neg_hi:[0,1,1]
	v_pk_fma_f16 v15, 0xb846, v3, v15 op_sel_hi:[0,1,1] neg_lo:[0,1,0] neg_hi:[0,1,0]
	v_pk_fma_f16 v3, 0xb846, v3, v14 op_sel_hi:[0,1,1]
	v_pk_add_f16 v2, v52, v2
	v_pk_add_f16 v51, v11, v13 op_sel:[1,1] op_sel_hi:[0,0] neg_lo:[1,1] neg_hi:[1,1]
	v_pk_fma_f16 v13, 0x2b26, v50, v13 op_sel_hi:[0,1,1] neg_lo:[0,1,0] neg_hi:[0,1,0]
	v_pk_fma_f16 v11, 0x2b26, v50, v11 op_sel_hi:[0,1,1]
	v_pk_add_f16 v14, v0, v5 op_sel:[1,1] op_sel_hi:[0,0] neg_lo:[1,1] neg_hi:[1,1]
	v_pk_fma_f16 v50, 0x3574, v53, v30 op_sel_hi:[0,1,1] neg_lo:[0,1,1] neg_hi:[0,1,1]
	v_pk_fma_f16 v5, 0x2b26, v7, v5 op_sel_hi:[0,1,1] neg_lo:[0,1,0] neg_hi:[0,1,0]
	;; [unrolled: 1-line block ×3, first 2 shown]
	v_pk_fma_f16 v0, 0x2b26, v7, v0 op_sel_hi:[0,1,1]
	v_pk_fma_f16 v4, 0xb846, v4, v29 op_sel_hi:[0,1,1]
	v_pk_fma_f16 v7, 0x3cab, v10, v17 op_sel_hi:[0,1,1] neg_lo:[0,1,0] neg_hi:[0,1,0]
	v_pk_fma_f16 v10, 0x370e, v1, v16 op_sel_hi:[0,1,1]
	v_pk_fma_f16 v15, 0x370e, v1, v15 op_sel_hi:[0,1,1]
	;; [unrolled: 1-line block ×3, first 2 shown]
	v_pk_fma_f16 v3, 0x3cab, v6, v18 op_sel_hi:[0,1,1] neg_lo:[0,1,0] neg_hi:[0,1,0]
	v_pk_fma_f16 v6, 0x370e, v2, v50 op_sel_hi:[0,1,1]
	v_pk_fma_f16 v16, 0x370e, v2, v30 op_sel_hi:[0,1,1]
	;; [unrolled: 1-line block ×3, first 2 shown]
	v_pk_add_f16 v4, v51, v7 op_sel:[0,1] op_sel_hi:[1,0]
	v_pk_add_f16 v13, v13, v7
	v_pk_add_f16 v7, v11, v7
	v_pk_add_f16 v11, v14, v3 op_sel:[0,1] op_sel_hi:[1,0]
	v_pk_add_f16 v5, v5, v3
	v_pk_add_f16 v0, v0, v3
	;; [unrolled: 1-line block ×3, first 2 shown]
	v_pk_add_f16 v4, v4, v10 neg_lo:[0,1] neg_hi:[0,1]
	v_pk_add_f16 v10, v13, v15 op_sel:[0,1] op_sel_hi:[1,0] neg_lo:[0,1] neg_hi:[0,1]
	v_pk_add_f16 v13, v13, v15 op_sel:[0,1] op_sel_hi:[1,0]
	v_pk_add_f16 v14, v7, v1 op_sel:[0,1] op_sel_hi:[1,0]
	v_pk_add_f16 v1, v7, v1 op_sel:[0,1] op_sel_hi:[1,0] neg_lo:[0,1] neg_hi:[0,1]
	v_pk_add_f16 v7, v11, v6
	v_pk_add_f16 v6, v11, v6 neg_lo:[0,1] neg_hi:[0,1]
	v_pk_add_f16 v11, v5, v16 op_sel:[0,1] op_sel_hi:[1,0] neg_lo:[0,1] neg_hi:[0,1]
	v_pk_add_f16 v5, v5, v16 op_sel:[0,1] op_sel_hi:[1,0]
	v_pk_add_f16 v15, v0, v2 op_sel:[0,1] op_sel_hi:[1,0]
	v_pk_add_f16 v0, v0, v2 op_sel:[0,1] op_sel_hi:[1,0] neg_lo:[0,1] neg_hi:[0,1]
	v_alignbit_b32 v2, v4, v3, 16
	v_bfi_b32 v16, 0xffff, v10, v13
	v_bfi_b32 v10, 0xffff, v13, v10
	v_alignbit_b32 v3, v3, v4, 16
	v_bfi_b32 v4, 0xffff, v1, v14
	v_bfi_b32 v1, 0xffff, v14, v1
	;; [unrolled: 3-line block ×4, first 2 shown]
	ds_write2_b32 v26, v2, v16 offset0:2 offset1:3
	ds_write2_b32 v26, v10, v3 offset0:4 offset1:5
	ds_write2_b32 v26, v17, v1 offset1:1
	ds_write_b32 v26, v4 offset:24
	ds_write2_b32 v25, v13, v14 offset0:2 offset1:3
	ds_write2_b32 v25, v5, v6 offset0:4 offset1:5
	ds_write2_b32 v25, v18, v0 offset1:1
	ds_write_b32 v25, v7 offset:24
	s_waitcnt lgkmcnt(0)
	s_barrier
	buffer_gl0_inv
	s_clause 0x3
	global_load_dwordx4 v[4:7], v28, s[2:3]
	global_load_dwordx4 v[0:3], v27, s[2:3]
	global_load_dwordx2 v[13:14], v28, s[2:3] offset:16
	global_load_dwordx2 v[15:16], v27, s[2:3] offset:16
	v_mov_b32_e32 v52, 49
	ds_read2_b32 v[10:11], v40 offset0:98 offset1:147
	ds_read2_b32 v[17:18], v40 offset0:196 offset1:245
	;; [unrolled: 1-line block ×5, first 2 shown]
	v_mul_u32_u24_sdwa v54, v21, v52 dst_sel:DWORD dst_unused:UNUSED_PAD src0_sel:WORD_0 src1_sel:DWORD
	v_mul_u32_u24_sdwa v55, v22, v52 dst_sel:DWORD dst_unused:UNUSED_PAD src0_sel:WORD_0 src1_sel:DWORD
	ds_read2_b32 v[52:53], v48 offset0:76 offset1:125
	v_mad_u64_u32 v[21:22], null, v49, 24, s[2:3]
	v_add_lshl_u32 v58, v54, v8, 2
	v_add_lshl_u32 v57, v55, v9, 2
	ds_read2_b32 v[8:9], v40 offset1:49
	s_waitcnt vmcnt(0) lgkmcnt(0)
	s_barrier
	buffer_gl0_inv
	s_mul_i32 s2, s29, 0x188
	v_lshrrev_b32_e32 v54, 16, v10
	v_lshrrev_b32_e32 v55, 16, v17
	;; [unrolled: 1-line block ×12, first 2 shown]
	v_mul_f16_sdwa v68, v54, v4 dst_sel:DWORD dst_unused:UNUSED_PAD src0_sel:DWORD src1_sel:WORD_1
	v_mul_f16_sdwa v69, v10, v4 dst_sel:DWORD dst_unused:UNUSED_PAD src0_sel:DWORD src1_sel:WORD_1
	;; [unrolled: 1-line block ×21, first 2 shown]
	v_fma_f16 v10, v10, v4, -v68
	v_mul_f16_sdwa v68, v53, v16 dst_sel:DWORD dst_unused:UNUSED_PAD src0_sel:DWORD src1_sel:WORD_1
	v_mul_f16_sdwa v81, v28, v2 dst_sel:DWORD dst_unused:UNUSED_PAD src0_sel:DWORD src1_sel:WORD_1
	;; [unrolled: 1-line block ×3, first 2 shown]
	v_fma_f16 v11, v11, v0, -v71
	v_fma_f16 v17, v17, v5, -v70
	;; [unrolled: 1-line block ×11, first 2 shown]
	v_fmac_f16_e32 v69, v54, v4
	v_fmac_f16_e32 v72, v55, v5
	;; [unrolled: 1-line block ×12, first 2 shown]
	v_add_f16_e32 v54, v10, v52
	v_sub_f16_e32 v10, v10, v52
	v_add_f16_e32 v52, v69, v90
	v_sub_f16_e32 v55, v69, v90
	v_add_f16_e32 v56, v17, v50
	v_sub_f16_e32 v17, v17, v50
	v_add_f16_e32 v50, v72, v86
	v_sub_f16_e32 v59, v72, v86
	v_add_f16_e32 v60, v27, v29
	v_sub_f16_e32 v27, v29, v27
	v_add_f16_e32 v29, v78, v82
	v_sub_f16_e32 v61, v82, v78
	v_add_f16_e32 v62, v11, v53
	v_sub_f16_e32 v11, v11, v53
	v_add_f16_e32 v64, v18, v51
	v_sub_f16_e32 v18, v18, v51
	v_add_f16_e32 v66, v28, v30
	v_sub_f16_e32 v28, v30, v28
	v_add_f16_e32 v53, v75, v68
	v_add_f16_e32 v51, v77, v87
	v_sub_f16_e32 v63, v75, v68
	v_sub_f16_e32 v65, v77, v87
	v_add_f16_e32 v30, v81, v83
	v_sub_f16_e32 v67, v83, v81
	v_add_f16_e32 v68, v56, v54
	v_sub_f16_e32 v69, v56, v54
	v_sub_f16_e32 v54, v54, v60
	;; [unrolled: 1-line block ×3, first 2 shown]
	v_add_f16_e32 v70, v50, v52
	v_sub_f16_e32 v71, v50, v52
	v_sub_f16_e32 v50, v29, v50
	v_add_f16_e32 v72, v27, v17
	v_sub_f16_e32 v73, v27, v17
	v_sub_f16_e32 v17, v17, v10
	;; [unrolled: 3-line block ×5, first 2 shown]
	v_sub_f16_e32 v52, v52, v29
	v_add_f16_e32 v78, v51, v53
	v_sub_f16_e32 v27, v10, v27
	v_sub_f16_e32 v61, v55, v61
	v_sub_f16_e32 v62, v62, v66
	v_sub_f16_e32 v28, v11, v28
	v_add_f16_e32 v60, v60, v68
	v_add_f16_e32 v29, v29, v70
	;; [unrolled: 1-line block ×6, first 2 shown]
	v_mul_f16_e32 v54, 0x3a52, v54
	v_mul_f16_e32 v68, 0x2b26, v56
	;; [unrolled: 1-line block ×10, first 2 shown]
	v_sub_f16_e32 v79, v51, v53
	v_sub_f16_e32 v53, v53, v30
	;; [unrolled: 1-line block ×3, first 2 shown]
	v_add_f16_e32 v82, v67, v65
	v_sub_f16_e32 v83, v67, v65
	v_add_f16_e32 v30, v30, v78
	v_mul_f16_e32 v52, 0x3a52, v52
	v_sub_f16_e32 v65, v65, v63
	v_fmamk_f16 v56, v56, 0x2b26, v54
	v_fma_f16 v68, v69, 0x39e0, -v68
	v_fma_f16 v54, v69, 0xb9e0, -v54
	;; [unrolled: 1-line block ×4, first 2 shown]
	v_fmamk_f16 v70, v27, 0x3574, v72
	v_fmac_f16_e32 v73, 0xb574, v27
	v_fma_f16 v27, v59, 0x3b00, -v74
	v_fmamk_f16 v59, v61, 0x3574, v74
	v_fmac_f16_e32 v75, 0xb574, v61
	v_add_f16_e32 v61, v8, v60
	v_add_f16_sdwa v8, v8, v29 dst_sel:DWORD dst_unused:UNUSED_PAD src0_sel:WORD_1 src1_sel:DWORD
	v_fma_f16 v72, v77, 0x39e0, -v76
	v_fma_f16 v18, v18, 0x3b00, -v80
	v_fmamk_f16 v76, v28, 0x3574, v80
	v_fmac_f16_e32 v81, 0xb574, v28
	v_sub_f16_e32 v67, v63, v67
	v_add_f16_e32 v63, v82, v63
	v_mul_f16_e32 v62, 0x3a52, v62
	v_mul_f16_e32 v53, 0x3a52, v53
	;; [unrolled: 1-line block ×4, first 2 shown]
	v_fmamk_f16 v50, v50, 0x2b26, v52
	v_fma_f16 v52, v71, 0xb9e0, -v52
	v_add_f16_e32 v71, v9, v66
	v_add_f16_sdwa v9, v9, v30 dst_sel:DWORD dst_unused:UNUSED_PAD src0_sel:WORD_1 src1_sel:DWORD
	v_mul_f16_e32 v83, 0xbb00, v65
	v_fmac_f16_e32 v70, 0x370e, v10
	v_fmac_f16_e32 v17, 0x370e, v10
	;; [unrolled: 1-line block ×6, first 2 shown]
	v_fmamk_f16 v10, v60, 0xbcab, v61
	v_fmamk_f16 v11, v29, 0xbcab, v8
	;; [unrolled: 1-line block ×4, first 2 shown]
	v_fma_f16 v74, v79, 0x39e0, -v78
	v_fma_f16 v28, v65, 0x3b00, -v82
	v_fmamk_f16 v65, v67, 0x3574, v82
	v_fmamk_f16 v29, v66, 0xbcab, v71
	;; [unrolled: 1-line block ×3, first 2 shown]
	v_fma_f16 v62, v77, 0xb9e0, -v62
	v_fma_f16 v53, v79, 0xb9e0, -v53
	v_fmac_f16_e32 v83, 0xb574, v67
	v_fmac_f16_e32 v59, 0x370e, v55
	;; [unrolled: 1-line block ×4, first 2 shown]
	v_add_f16_e32 v55, v56, v10
	v_add_f16_e32 v50, v50, v11
	;; [unrolled: 1-line block ×6, first 2 shown]
	v_fmac_f16_e32 v65, 0x370e, v63
	v_fmac_f16_e32 v28, 0x370e, v63
	v_pack_b32_f16 v8, v61, v8
	v_add_f16_e32 v52, v64, v29
	v_add_f16_e32 v60, v72, v29
	;; [unrolled: 1-line block ×4, first 2 shown]
	v_fmac_f16_e32 v83, 0x370e, v63
	v_add_f16_e32 v29, v62, v29
	v_add_f16_e32 v30, v53, v30
	;; [unrolled: 1-line block ×3, first 2 shown]
	v_sub_f16_e32 v55, v55, v59
	v_sub_f16_e32 v59, v50, v70
	;; [unrolled: 1-line block ×3, first 2 shown]
	v_add_f16_e32 v27, v27, v56
	v_add_f16_e32 v56, v17, v54
	v_sub_f16_e32 v17, v54, v17
	v_add_f16_e32 v54, v75, v10
	v_sub_f16_e32 v62, v11, v73
	v_sub_f16_e32 v10, v10, v75
	v_add_f16_e32 v11, v73, v11
	v_add_f16_e32 v50, v70, v50
	v_sub_f16_e32 v64, v60, v28
	v_add_f16_e32 v28, v28, v60
	v_add_f16_e32 v60, v18, v61
	v_sub_f16_e32 v18, v61, v18
	v_add_f16_e32 v67, v65, v52
	v_sub_f16_e32 v52, v52, v65
	v_sub_f16_e32 v65, v51, v76
	v_add_f16_e32 v61, v83, v29
	v_sub_f16_e32 v29, v29, v83
	v_sub_f16_e32 v66, v30, v81
	v_add_f16_e32 v30, v81, v30
	v_add_f16_e32 v51, v76, v51
	v_pack_b32_f16 v59, v63, v59
	v_pack_b32_f16 v54, v54, v62
	;; [unrolled: 1-line block ×13, first 2 shown]
	ds_write2_b32 v58, v8, v59 offset1:7
	ds_write2_b32 v58, v54, v53 offset0:14 offset1:21
	ds_write2_b32 v58, v17, v10 offset0:28 offset1:35
	ds_write_b32 v58, v11 offset:168
	ds_write2_b32 v57, v9, v27 offset1:7
	ds_write2_b32 v57, v50, v55 offset0:14 offset1:21
	ds_write2_b32 v57, v18, v28 offset0:28 offset1:35
	ds_write_b32 v57, v29 offset:168
	s_waitcnt lgkmcnt(0)
	s_barrier
	buffer_gl0_inv
	s_clause 0x1
	global_load_dwordx4 v[8:11], v[21:22], off offset:168
	global_load_dwordx2 v[17:18], v[21:22], off offset:184
	v_mul_i32_i24_e32 v56, 0xffffffec, v49
	ds_read2_b32 v[27:28], v40 offset0:98 offset1:147
	ds_read2_b32 v[29:30], v40 offset0:196 offset1:245
	;; [unrolled: 1-line block ×3, first 2 shown]
	v_mul_hi_i32_i24_e32 v59, 0xffffffec, v49
	ds_read2_b32 v[52:53], v46 offset0:136 offset1:185
	ds_read2_b32 v[54:55], v48 offset0:76 offset1:125
	ds_read2_b32 v[63:64], v40 offset1:49
	v_add_co_u32 v21, vcc_lo, v21, v56
	v_add_co_ci_u32_e32 v22, vcc_lo, v22, v59, vcc_lo
	ds_read2_b32 v[59:60], v47 offset0:106 offset1:155
	v_add_co_u32 v61, vcc_lo, 0x800, v21
	v_add_co_ci_u32_e32 v62, vcc_lo, 0, v22, vcc_lo
	s_waitcnt vmcnt(0) lgkmcnt(0)
	s_barrier
	buffer_gl0_inv
	v_lshrrev_b32_e32 v56, 16, v27
	v_lshrrev_b32_e32 v65, 16, v29
	;; [unrolled: 1-line block ×12, first 2 shown]
	v_mul_f16_sdwa v79, v65, v9 dst_sel:DWORD dst_unused:UNUSED_PAD src0_sel:DWORD src1_sel:WORD_1
	v_mul_f16_sdwa v77, v56, v8 dst_sel:DWORD dst_unused:UNUSED_PAD src0_sel:DWORD src1_sel:WORD_1
	;; [unrolled: 1-line block ×9, first 2 shown]
	v_fma_f16 v29, v29, v9, -v79
	v_mul_f16_sdwa v79, v73, v18 dst_sel:DWORD dst_unused:UNUSED_PAD src0_sel:DWORD src1_sel:WORD_1
	v_mul_f16_sdwa v76, v27, v8 dst_sel:DWORD dst_unused:UNUSED_PAD src0_sel:DWORD src1_sel:WORD_1
	;; [unrolled: 1-line block ×7, first 2 shown]
	v_fma_f16 v27, v27, v8, -v77
	v_fma_f16 v28, v28, v8, -v80
	v_mul_f16_sdwa v77, v53, v11 dst_sel:DWORD dst_unused:UNUSED_PAD src0_sel:DWORD src1_sel:WORD_1
	v_mul_f16_sdwa v80, v72, v18 dst_sel:DWORD dst_unused:UNUSED_PAD src0_sel:DWORD src1_sel:WORD_1
	v_fma_f16 v30, v30, v9, -v83
	v_mul_f16_sdwa v83, v54, v18 dst_sel:DWORD dst_unused:UNUSED_PAD src0_sel:DWORD src1_sel:WORD_1
	v_fma_f16 v51, v51, v10, -v85
	;; [unrolled: 2-line block ×3, first 2 shown]
	v_fma_f16 v53, v53, v11, -v89
	v_mul_f16_sdwa v88, v75, v17 dst_sel:DWORD dst_unused:UNUSED_PAD src0_sel:DWORD src1_sel:WORD_1
	v_mul_f16_sdwa v89, v59, v17 dst_sel:DWORD dst_unused:UNUSED_PAD src0_sel:DWORD src1_sel:WORD_1
	v_fma_f16 v50, v50, v10, -v82
	v_mul_f16_sdwa v82, v55, v18 dst_sel:DWORD dst_unused:UNUSED_PAD src0_sel:DWORD src1_sel:WORD_1
	v_fma_f16 v55, v55, v18, -v79
	v_mul_f16_sdwa v79, v60, v17 dst_sel:DWORD dst_unused:UNUSED_PAD src0_sel:DWORD src1_sel:WORD_1
	v_fma_f16 v54, v54, v18, -v80
	v_fma_f16 v59, v59, v17, -v85
	v_fma_f16 v60, v60, v17, -v88
	v_fmac_f16_e32 v76, v56, v8
	v_fmac_f16_e32 v83, v72, v18
	;; [unrolled: 1-line block ×12, first 2 shown]
	v_add_f16_e32 v56, v27, v54
	v_sub_f16_e32 v27, v27, v54
	v_add_f16_e32 v54, v76, v83
	v_sub_f16_e32 v65, v76, v83
	;; [unrolled: 2-line block ×6, first 2 shown]
	v_add_f16_e32 v70, v28, v55
	v_add_f16_e32 v72, v30, v60
	v_sub_f16_e32 v28, v28, v55
	v_add_f16_e32 v55, v84, v82
	v_sub_f16_e32 v30, v30, v60
	;; [unrolled: 2-line block ×4, first 2 shown]
	v_sub_f16_e32 v75, v77, v87
	v_sub_f16_e32 v71, v84, v82
	v_add_f16_e32 v76, v66, v56
	v_add_f16_e32 v78, v59, v54
	v_sub_f16_e32 v79, v54, v52
	v_sub_f16_e32 v54, v59, v54
	v_sub_f16_e32 v59, v52, v59
	v_add_f16_e32 v80, v50, v29
	v_sub_f16_e32 v81, v50, v29
	v_sub_f16_e32 v29, v29, v27
	v_add_f16_e32 v82, v69, v67
	v_sub_f16_e32 v83, v69, v67
	v_sub_f16_e32 v67, v67, v65
	v_add_f16_e32 v84, v72, v70
	v_add_f16_e32 v53, v87, v77
	v_sub_f16_e32 v77, v56, v68
	v_sub_f16_e32 v56, v66, v56
	;; [unrolled: 1-line block ×5, first 2 shown]
	v_add_f16_e32 v86, v60, v55
	v_add_f16_e32 v88, v51, v30
	v_sub_f16_e32 v89, v51, v30
	v_sub_f16_e32 v30, v30, v28
	v_add_f16_e32 v90, v75, v73
	v_sub_f16_e32 v50, v27, v50
	v_sub_f16_e32 v69, v65, v69
	v_sub_f16_e32 v70, v70, v74
	v_add_f16_e32 v68, v68, v76
	v_add_f16_e32 v52, v52, v78
	;; [unrolled: 1-line block ×5, first 2 shown]
	v_mul_f16_e32 v80, 0xb846, v81
	v_mul_f16_e32 v81, 0xbb00, v29
	;; [unrolled: 1-line block ×6, first 2 shown]
	v_sub_f16_e32 v87, v60, v55
	v_sub_f16_e32 v55, v55, v53
	;; [unrolled: 1-line block ×7, first 2 shown]
	v_add_f16_e32 v53, v53, v86
	v_add_f16_e32 v71, v90, v71
	v_mul_f16_e32 v77, 0x3a52, v77
	v_mul_f16_e32 v78, 0x2b26, v66
	;; [unrolled: 1-line block ×5, first 2 shown]
	v_fma_f16 v29, v29, 0x3b00, -v80
	v_fmamk_f16 v80, v50, 0x3574, v80
	v_fmac_f16_e32 v81, 0xb574, v50
	v_fma_f16 v50, v67, 0x3b00, -v82
	v_fmamk_f16 v67, v69, 0x3574, v82
	v_fmac_f16_e32 v83, 0xb574, v69
	v_fmamk_f16 v59, v59, 0x2b26, v79
	v_fma_f16 v69, v54, 0x39e0, -v84
	v_fma_f16 v54, v54, 0xb9e0, -v79
	v_add_f16_e32 v79, v63, v68
	v_add_f16_sdwa v63, v63, v52 dst_sel:DWORD dst_unused:UNUSED_PAD src0_sel:WORD_1 src1_sel:DWORD
	v_add_f16_e32 v28, v88, v28
	v_mul_f16_e32 v70, 0x3a52, v70
	v_mul_f16_e32 v55, 0x3a52, v55
	;; [unrolled: 1-line block ×4, first 2 shown]
	v_fmamk_f16 v66, v66, 0x2b26, v77
	v_fma_f16 v78, v56, 0x39e0, -v78
	v_fma_f16 v56, v56, 0xb9e0, -v77
	v_mul_f16_e32 v77, 0xbb00, v73
	v_add_f16_e32 v82, v64, v74
	v_add_f16_sdwa v64, v64, v53 dst_sel:DWORD dst_unused:UNUSED_PAD src0_sel:WORD_1 src1_sel:DWORD
	v_fma_f16 v84, v85, 0x39e0, -v86
	v_fma_f16 v30, v30, 0x3b00, -v89
	v_fmamk_f16 v86, v51, 0x3574, v89
	v_fmac_f16_e32 v90, 0xb574, v51
	v_fmamk_f16 v68, v68, 0xbcab, v79
	v_fmamk_f16 v52, v52, 0xbcab, v63
	;; [unrolled: 1-line block ×3, first 2 shown]
	v_fma_f16 v70, v85, 0xb9e0, -v70
	v_fmamk_f16 v60, v60, 0x2b26, v55
	v_fma_f16 v85, v87, 0x39e0, -v88
	v_fma_f16 v55, v87, 0xb9e0, -v55
	;; [unrolled: 1-line block ×3, first 2 shown]
	v_fmamk_f16 v73, v75, 0x3574, v76
	v_fmac_f16_e32 v77, 0xb574, v75
	v_fmac_f16_e32 v80, 0x370e, v27
	;; [unrolled: 1-line block ×7, first 2 shown]
	v_fmamk_f16 v27, v74, 0xbcab, v82
	v_fmamk_f16 v28, v53, 0xbcab, v64
	v_fmac_f16_e32 v67, 0x370e, v65
	v_pack_b32_f16 v53, v82, v64
	v_add_f16_e32 v64, v66, v68
	v_add_f16_e32 v59, v59, v52
	v_fmac_f16_e32 v50, 0x370e, v65
	v_fmac_f16_e32 v83, 0x370e, v65
	v_add_f16_e32 v65, v78, v68
	v_add_f16_e32 v56, v56, v68
	;; [unrolled: 1-line block ×4, first 2 shown]
	v_fmac_f16_e32 v73, 0x370e, v71
	v_fmac_f16_e32 v51, 0x370e, v71
	;; [unrolled: 1-line block ×3, first 2 shown]
	v_add_f16_e32 v66, v72, v27
	v_add_f16_e32 v68, v84, v27
	;; [unrolled: 1-line block ×7, first 2 shown]
	v_sub_f16_e32 v64, v64, v67
	v_sub_f16_e32 v67, v59, v80
	;; [unrolled: 1-line block ×3, first 2 shown]
	v_add_f16_e32 v50, v50, v65
	v_add_f16_e32 v65, v29, v52
	v_sub_f16_e32 v29, v52, v29
	v_add_f16_e32 v52, v83, v56
	v_sub_f16_e32 v70, v54, v81
	v_sub_f16_e32 v56, v56, v83
	v_add_f16_e32 v54, v81, v54
	v_add_f16_e32 v59, v80, v59
	v_sub_f16_e32 v72, v68, v51
	v_add_f16_e32 v51, v51, v68
	v_add_f16_e32 v68, v30, v69
	v_sub_f16_e32 v30, v69, v30
	v_add_f16_e32 v69, v77, v27
	v_sub_f16_e32 v74, v28, v90
	;; [unrolled: 2-line block ×3, first 2 shown]
	v_sub_f16_e32 v73, v60, v86
	v_pack_b32_f16 v63, v79, v63
	v_sub_f16_e32 v27, v27, v77
	v_add_f16_e32 v28, v90, v28
	v_add_f16_e32 v60, v86, v60
	v_pack_b32_f16 v67, v71, v67
	v_pack_b32_f16 v52, v52, v70
	;; [unrolled: 1-line block ×12, first 2 shown]
	ds_write2_b32 v40, v63, v67 offset1:49
	ds_write2_b32 v40, v52, v55 offset0:98 offset1:147
	ds_write2_b32 v40, v29, v50 offset0:196 offset1:245
	;; [unrolled: 1-line block ×6, first 2 shown]
	s_waitcnt lgkmcnt(0)
	s_barrier
	buffer_gl0_inv
	s_clause 0x6
	global_load_dword v51, v[21:22], off offset:1540
	global_load_dword v52, v[21:22], off offset:1736
	;; [unrolled: 1-line block ×7, first 2 shown]
	ds_read2_b32 v[21:22], v46 offset0:136 offset1:185
	ds_read2_b32 v[27:28], v47 offset0:106 offset1:155
	;; [unrolled: 1-line block ×4, first 2 shown]
	ds_read2_b32 v[61:62], v40 offset1:49
	ds_read2_b32 v[63:64], v40 offset0:98 offset1:147
	ds_read2_b32 v[65:66], v40 offset0:196 offset1:245
	s_waitcnt lgkmcnt(6)
	v_lshrrev_b32_e32 v67, 16, v21
	s_waitcnt lgkmcnt(5)
	v_lshrrev_b32_e32 v69, 16, v27
	v_lshrrev_b32_e32 v70, 16, v28
	v_lshrrev_b32_e32 v68, 16, v22
	s_waitcnt lgkmcnt(3)
	v_lshrrev_b32_e32 v73, 16, v60
	v_lshrrev_b32_e32 v71, 16, v29
	;; [unrolled: 4-line block ×3, first 2 shown]
	s_waitcnt lgkmcnt(1)
	v_lshrrev_b32_e32 v76, 16, v63
	v_lshrrev_b32_e32 v77, 16, v64
	s_waitcnt lgkmcnt(0)
	v_lshrrev_b32_e32 v78, 16, v65
	v_lshrrev_b32_e32 v79, 16, v66
	;; [unrolled: 1-line block ×3, first 2 shown]
	s_waitcnt vmcnt(6)
	v_mul_f16_sdwa v81, v67, v51 dst_sel:DWORD dst_unused:UNUSED_PAD src0_sel:DWORD src1_sel:WORD_1
	s_waitcnt vmcnt(5)
	v_mul_f16_sdwa v82, v68, v52 dst_sel:DWORD dst_unused:UNUSED_PAD src0_sel:DWORD src1_sel:WORD_1
	;; [unrolled: 2-line block ×4, first 2 shown]
	v_mul_f16_sdwa v83, v21, v51 dst_sel:DWORD dst_unused:UNUSED_PAD src0_sel:DWORD src1_sel:WORD_1
	v_mul_f16_sdwa v87, v27, v50 dst_sel:DWORD dst_unused:UNUSED_PAD src0_sel:DWORD src1_sel:WORD_1
	v_mul_f16_sdwa v88, v28, v53 dst_sel:DWORD dst_unused:UNUSED_PAD src0_sel:DWORD src1_sel:WORD_1
	v_fma_f16 v27, v27, v50, -v84
	v_fma_f16 v28, v28, v53, -v85
	s_waitcnt vmcnt(0)
	v_mul_f16_sdwa v84, v60, v56 dst_sel:DWORD dst_unused:UNUSED_PAD src0_sel:DWORD src1_sel:WORD_1
	v_mul_f16_sdwa v85, v73, v56 dst_sel:DWORD dst_unused:UNUSED_PAD src0_sel:DWORD src1_sel:WORD_1
	;; [unrolled: 1-line block ×4, first 2 shown]
	v_fma_f16 v21, v21, v51, -v81
	v_mul_f16_sdwa v81, v29, v54 dst_sel:DWORD dst_unused:UNUSED_PAD src0_sel:DWORD src1_sel:WORD_1
	v_mul_f16_sdwa v90, v72, v55 dst_sel:DWORD dst_unused:UNUSED_PAD src0_sel:DWORD src1_sel:WORD_1
	v_fma_f16 v22, v22, v52, -v82
	v_mul_f16_sdwa v82, v30, v55 dst_sel:DWORD dst_unused:UNUSED_PAD src0_sel:DWORD src1_sel:WORD_1
	v_fmac_f16_e32 v83, v67, v51
	v_fma_f16 v60, v60, v56, -v85
	v_fmac_f16_e32 v84, v73, v56
	v_fmac_f16_e32 v86, v68, v52
	;; [unrolled: 1-line block ×3, first 2 shown]
	v_fma_f16 v29, v29, v54, -v89
	v_fmac_f16_e32 v88, v70, v53
	v_fmac_f16_e32 v81, v71, v54
	v_fma_f16 v30, v30, v55, -v90
	v_fmac_f16_e32 v82, v72, v55
	v_sub_f16_e32 v60, v61, v60
	v_sub_f16_e32 v21, v62, v21
	;; [unrolled: 1-line block ×14, first 2 shown]
	v_fma_f16 v61, v61, 2.0, -v60
	v_fma_f16 v62, v62, 2.0, -v21
	;; [unrolled: 1-line block ×3, first 2 shown]
	v_pack_b32_f16 v60, v60, v67
	v_fma_f16 v67, v75, 2.0, -v68
	v_pack_b32_f16 v21, v21, v68
	v_fma_f16 v68, v76, 2.0, -v69
	;; [unrolled: 2-line block ×3, first 2 shown]
	v_fma_f16 v63, v64, 2.0, -v27
	v_fma_f16 v64, v77, 2.0, -v70
	v_pack_b32_f16 v27, v27, v70
	v_fma_f16 v70, v78, 2.0, -v71
	v_pack_b32_f16 v71, v28, v71
	v_fma_f16 v28, v65, 2.0, -v28
	v_fma_f16 v65, v66, 2.0, -v29
	v_fma_f16 v66, v79, 2.0, -v72
	v_fma_f16 v59, v59, 2.0, -v30
	v_pack_b32_f16 v29, v29, v72
	v_fma_f16 v72, v80, 2.0, -v73
	v_pack_b32_f16 v61, v61, v74
	v_pack_b32_f16 v62, v62, v67
	ds_write_b32 v40, v60 offset:1372
	v_pack_b32_f16 v22, v22, v68
	v_pack_b32_f16 v60, v63, v64
	;; [unrolled: 1-line block ×6, first 2 shown]
	ds_write2_b32 v40, v61, v62 offset1:49
	ds_write2_b32 v46, v21, v69 offset0:136 offset1:185
	ds_write2_b32 v40, v22, v60 offset0:98 offset1:147
	;; [unrolled: 1-line block ×4, first 2 shown]
	ds_write_b32 v40, v59 offset:1176
	ds_write2_b32 v48, v29, v30 offset0:76 offset1:125
	s_waitcnt lgkmcnt(0)
	s_barrier
	buffer_gl0_inv
	global_load_dword v27, v[19:20], off offset:696
	v_add_co_u32 v19, vcc_lo, 0xab8, v23
	v_add_co_ci_u32_e32 v20, vcc_lo, 0, v24, vcc_lo
	s_clause 0x8
	global_load_dword v29, v[19:20], off offset:196
	global_load_dword v61, v[19:20], off offset:392
	;; [unrolled: 1-line block ×9, first 2 shown]
	v_add_co_u32 v21, vcc_lo, 0x1000, v23
	v_add_co_ci_u32_e32 v22, vcc_lo, 0, v24, vcc_lo
	s_clause 0x3
	global_load_dword v69, v[19:20], off offset:1960
	global_load_dword v70, v[21:22], off offset:804
	;; [unrolled: 1-line block ×4, first 2 shown]
	ds_read2_b32 v[19:20], v40 offset1:49
	v_add_nc_u32_e32 v73, 0x200, v40
	s_waitcnt lgkmcnt(0)
	v_lshrrev_b32_e32 v21, 16, v19
	v_lshrrev_b32_e32 v30, 16, v20
	s_waitcnt vmcnt(13)
	v_mul_f16_sdwa v22, v19, v27 dst_sel:DWORD dst_unused:UNUSED_PAD src0_sel:DWORD src1_sel:WORD_1
	v_mul_f16_sdwa v23, v21, v27 dst_sel:DWORD dst_unused:UNUSED_PAD src0_sel:DWORD src1_sel:WORD_1
	s_waitcnt vmcnt(12)
	v_mul_f16_sdwa v59, v20, v29 dst_sel:DWORD dst_unused:UNUSED_PAD src0_sel:DWORD src1_sel:WORD_1
	v_fmac_f16_e32 v22, v21, v27
	v_fma_f16 v19, v19, v27, -v23
	v_fmac_f16_e32 v59, v30, v29
	v_pack_b32_f16 v19, v19, v22
	ds_write_b32 v40, v19
	ds_read2_b32 v[21:22], v40 offset0:98 offset1:147
	ds_read2_b32 v[23:24], v40 offset0:196 offset1:245
	v_mul_f16_sdwa v19, v30, v29 dst_sel:DWORD dst_unused:UNUSED_PAD src0_sel:DWORD src1_sel:WORD_1
	ds_read2_b32 v[27:28], v46 offset0:38 offset1:87
	v_fma_f16 v60, v20, v29, -v19
	ds_read2_b32 v[19:20], v46 offset0:136 offset1:185
	v_pack_b32_f16 v74, v60, v59
	ds_read2_b32 v[29:30], v47 offset0:106 offset1:155
	ds_read2_b32 v[59:60], v48 offset0:76 offset1:125
	s_waitcnt lgkmcnt(5)
	v_lshrrev_b32_e32 v75, 16, v21
	s_waitcnt vmcnt(11)
	v_mul_f16_sdwa v76, v21, v61 dst_sel:DWORD dst_unused:UNUSED_PAD src0_sel:DWORD src1_sel:WORD_1
	v_lshrrev_b32_e32 v77, 16, v22
	s_waitcnt vmcnt(10)
	v_mul_f16_sdwa v78, v22, v62 dst_sel:DWORD dst_unused:UNUSED_PAD src0_sel:DWORD src1_sel:WORD_1
	s_waitcnt lgkmcnt(4)
	v_lshrrev_b32_e32 v79, 16, v23
	v_lshrrev_b32_e32 v81, 16, v24
	v_mul_f16_sdwa v90, v75, v61 dst_sel:DWORD dst_unused:UNUSED_PAD src0_sel:DWORD src1_sel:WORD_1
	v_fmac_f16_e32 v76, v75, v61
	v_mul_f16_sdwa v75, v77, v62 dst_sel:DWORD dst_unused:UNUSED_PAD src0_sel:DWORD src1_sel:WORD_1
	s_waitcnt vmcnt(9)
	v_mul_f16_sdwa v80, v23, v63 dst_sel:DWORD dst_unused:UNUSED_PAD src0_sel:DWORD src1_sel:WORD_1
	s_waitcnt vmcnt(8)
	v_mul_f16_sdwa v82, v24, v64 dst_sel:DWORD dst_unused:UNUSED_PAD src0_sel:DWORD src1_sel:WORD_1
	v_fmac_f16_e32 v78, v77, v62
	v_fma_f16 v21, v21, v61, -v90
	v_fma_f16 v22, v22, v62, -v75
	v_mul_f16_sdwa v62, v79, v63 dst_sel:DWORD dst_unused:UNUSED_PAD src0_sel:DWORD src1_sel:WORD_1
	v_mul_f16_sdwa v90, v81, v64 dst_sel:DWORD dst_unused:UNUSED_PAD src0_sel:DWORD src1_sel:WORD_1
	s_waitcnt lgkmcnt(3)
	v_lshrrev_b32_e32 v83, 16, v27
	s_waitcnt vmcnt(7)
	v_mul_f16_sdwa v84, v27, v65 dst_sel:DWORD dst_unused:UNUSED_PAD src0_sel:DWORD src1_sel:WORD_1
	v_lshrrev_b32_e32 v85, 16, v28
	s_waitcnt vmcnt(6)
	v_mul_f16_sdwa v86, v28, v66 dst_sel:DWORD dst_unused:UNUSED_PAD src0_sel:DWORD src1_sel:WORD_1
	s_waitcnt lgkmcnt(2)
	v_lshrrev_b32_e32 v87, 16, v19
	s_waitcnt vmcnt(5)
	v_mul_f16_sdwa v88, v19, v67 dst_sel:DWORD dst_unused:UNUSED_PAD src0_sel:DWORD src1_sel:WORD_1
	v_lshrrev_b32_e32 v89, 16, v20
	s_waitcnt vmcnt(4)
	v_mul_f16_sdwa v77, v20, v68 dst_sel:DWORD dst_unused:UNUSED_PAD src0_sel:DWORD src1_sel:WORD_1
	s_waitcnt lgkmcnt(1)
	v_lshrrev_b32_e32 v61, 16, v29
	s_waitcnt vmcnt(3)
	v_mul_f16_sdwa v75, v29, v69 dst_sel:DWORD dst_unused:UNUSED_PAD src0_sel:DWORD src1_sel:WORD_1
	v_fmac_f16_e32 v80, v79, v63
	v_lshrrev_b32_e32 v79, 16, v30
	v_fma_f16 v23, v23, v63, -v62
	s_waitcnt vmcnt(2)
	v_mul_f16_sdwa v62, v30, v70 dst_sel:DWORD dst_unused:UNUSED_PAD src0_sel:DWORD src1_sel:WORD_1
	v_fma_f16 v24, v24, v64, -v90
	s_waitcnt lgkmcnt(0)
	v_lshrrev_b32_e32 v63, 16, v59
	s_waitcnt vmcnt(1)
	v_mul_f16_sdwa v90, v59, v71 dst_sel:DWORD dst_unused:UNUSED_PAD src0_sel:DWORD src1_sel:WORD_1
	v_fmac_f16_e32 v82, v81, v64
	v_lshrrev_b32_e32 v64, 16, v60
	s_waitcnt vmcnt(0)
	v_mul_f16_sdwa v81, v60, v72 dst_sel:DWORD dst_unused:UNUSED_PAD src0_sel:DWORD src1_sel:WORD_1
	v_fmac_f16_e32 v84, v83, v65
	v_mul_f16_sdwa v83, v83, v65 dst_sel:DWORD dst_unused:UNUSED_PAD src0_sel:DWORD src1_sel:WORD_1
	v_fmac_f16_e32 v86, v85, v66
	;; [unrolled: 2-line block ×8, first 2 shown]
	v_mul_f16_sdwa v64, v64, v72 dst_sel:DWORD dst_unused:UNUSED_PAD src0_sel:DWORD src1_sel:WORD_1
	v_fma_f16 v27, v27, v65, -v83
	v_fma_f16 v28, v28, v66, -v85
	;; [unrolled: 1-line block ×8, first 2 shown]
	v_pack_b32_f16 v21, v21, v76
	v_pack_b32_f16 v23, v23, v80
	;; [unrolled: 1-line block ×12, first 2 shown]
	ds_write2_b32 v40, v74, v21 offset0:49 offset1:98
	ds_write2_b32 v40, v22, v23 offset0:147 offset1:196
	;; [unrolled: 1-line block ×6, first 2 shown]
	ds_write_b32 v40, v60 offset:2548
	s_waitcnt lgkmcnt(0)
	s_barrier
	buffer_gl0_inv
	ds_read2_b32 v[19:20], v40 offset0:98 offset1:147
	ds_read2_b32 v[21:22], v48 offset0:76 offset1:125
	ds_read2_b32 v[23:24], v40 offset0:196 offset1:245
	ds_read2_b32 v[27:28], v47 offset0:106 offset1:155
	ds_read2_b32 v[29:30], v46 offset0:38 offset1:87
	ds_read2_b32 v[59:60], v46 offset0:136 offset1:185
	ds_read2_b32 v[61:62], v40 offset1:49
	s_waitcnt lgkmcnt(0)
	s_barrier
	buffer_gl0_inv
	v_pk_add_f16 v63, v20, v22
	v_pk_add_f16 v64, v19, v21
	v_pk_add_f16 v20, v20, v22 neg_lo:[0,1] neg_hi:[0,1]
	v_pk_add_f16 v22, v23, v27
	v_pk_add_f16 v19, v19, v21 neg_lo:[0,1] neg_hi:[0,1]
	;; [unrolled: 2-line block ×3, first 2 shown]
	v_pk_add_f16 v24, v24, v28 neg_lo:[0,1] neg_hi:[0,1]
	v_pk_add_f16 v27, v30, v60
	v_pk_add_f16 v28, v29, v59
	v_pk_add_f16 v29, v59, v29 neg_lo:[0,1] neg_hi:[0,1]
	v_pk_add_f16 v30, v60, v30 neg_lo:[0,1] neg_hi:[0,1]
	v_pk_add_f16 v59, v22, v64
	v_pk_add_f16 v67, v21, v63
	v_pk_add_f16 v60, v22, v64 neg_lo:[0,1] neg_hi:[0,1]
	v_pk_add_f16 v64, v64, v28 neg_lo:[0,1] neg_hi:[0,1]
	v_pk_add_f16 v22, v28, v22 neg_lo:[0,1] neg_hi:[0,1]
	v_pk_add_f16 v65, v29, v23
	v_pk_add_f16 v66, v23, v19 neg_lo:[0,1] neg_hi:[0,1]
	v_pk_add_f16 v23, v29, v23 neg_lo:[0,1] neg_hi:[0,1]
	v_pk_add_f16 v29, v19, v29 neg_lo:[0,1] neg_hi:[0,1]
	;; [unrolled: 4-line block ×4, first 2 shown]
	v_pk_add_f16 v27, v27, v67
	v_pk_add_f16 v19, v65, v19
	v_pk_mul_f16 v59, 0x3a52, v64 op_sel_hi:[0,1]
	v_pk_mul_f16 v60, 0x39e0, v60 op_sel_hi:[0,1]
	;; [unrolled: 1-line block ×6, first 2 shown]
	v_pk_add_f16 v61, v61, v28
	v_pk_mul_f16 v63, 0x3a52, v63 op_sel_hi:[0,1]
	v_pk_mul_f16 v67, 0x39e0, v68 op_sel_hi:[0,1]
	v_pk_add_f16 v62, v62, v27
	v_pk_add_f16 v20, v69, v20
	v_pk_add_f16 v68, v59, v60 op_sel:[1,1] op_sel_hi:[0,0] neg_lo:[1,1] neg_hi:[1,1]
	v_pk_fma_f16 v60, 0x2b26, v22, v60 op_sel_hi:[0,1,1] neg_lo:[0,1,0] neg_hi:[0,1,0]
	v_pk_fma_f16 v22, 0x2b26, v22, v59 op_sel_hi:[0,1,1]
	v_pk_fma_f16 v29, 0xb574, v29, v64 op_sel_hi:[0,1,1] neg_lo:[0,1,1] neg_hi:[0,1,1]
	v_pk_fma_f16 v59, 0x3846, v23, v64 op_sel_hi:[0,1,1] neg_lo:[0,1,0] neg_hi:[0,1,0]
	v_pk_fma_f16 v23, 0x3846, v23, v65 op_sel_hi:[0,1,1]
	v_pk_fma_f16 v64, 0xb574, v70, v24 op_sel_hi:[0,1,1] neg_lo:[0,1,1] neg_hi:[0,1,1]
	;; [unrolled: 3-line block ×3, first 2 shown]
	v_pk_add_f16 v65, v63, v67 op_sel:[1,1] op_sel_hi:[0,0] neg_lo:[1,1] neg_hi:[1,1]
	v_pk_fma_f16 v66, 0x2b26, v21, v67 op_sel_hi:[0,1,1] neg_lo:[0,1,0] neg_hi:[0,1,0]
	v_pk_fma_f16 v21, 0x2b26, v21, v63 op_sel_hi:[0,1,1]
	v_pk_fma_f16 v27, 0x3cab, v27, v62 op_sel_hi:[0,1,1] neg_lo:[0,1,0] neg_hi:[0,1,0]
	v_pk_fma_f16 v29, 0xb70e, v19, v29 op_sel_hi:[0,1,1]
	v_pk_fma_f16 v59, 0xb70e, v19, v59 op_sel_hi:[0,1,1]
	;; [unrolled: 1-line block ×6, first 2 shown]
	v_pk_add_f16 v30, v68, v28 op_sel:[0,1] op_sel_hi:[1,0]
	v_pk_add_f16 v60, v60, v28
	v_pk_add_f16 v22, v22, v28
	v_pk_add_f16 v28, v65, v27 op_sel:[0,1] op_sel_hi:[1,0]
	v_pk_add_f16 v63, v66, v27
	v_pk_add_f16 v21, v21, v27
	v_pk_add_f16 v27, v30, v29
	v_pk_add_f16 v29, v30, v29 neg_lo:[0,1] neg_hi:[0,1]
	v_pk_add_f16 v30, v60, v59 op_sel:[0,1] op_sel_hi:[1,0] neg_lo:[0,1] neg_hi:[0,1]
	v_pk_add_f16 v59, v60, v59 op_sel:[0,1] op_sel_hi:[1,0]
	v_pk_add_f16 v60, v22, v19 op_sel:[0,1] op_sel_hi:[1,0]
	v_pk_add_f16 v19, v22, v19 op_sel:[0,1] op_sel_hi:[1,0] neg_lo:[0,1] neg_hi:[0,1]
	v_pk_add_f16 v22, v28, v23
	v_pk_add_f16 v23, v28, v23 neg_lo:[0,1] neg_hi:[0,1]
	v_pk_add_f16 v28, v63, v24 op_sel:[0,1] op_sel_hi:[1,0] neg_lo:[0,1] neg_hi:[0,1]
	v_pk_add_f16 v24, v63, v24 op_sel:[0,1] op_sel_hi:[1,0]
	v_pk_add_f16 v63, v21, v20 op_sel:[0,1] op_sel_hi:[1,0]
	v_pk_add_f16 v20, v21, v20 op_sel:[0,1] op_sel_hi:[1,0] neg_lo:[0,1] neg_hi:[0,1]
	v_alignbit_b32 v21, v29, v27, 16
	v_bfi_b32 v64, 0xffff, v30, v59
	v_bfi_b32 v30, 0xffff, v59, v30
	v_alignbit_b32 v27, v27, v29, 16
	v_bfi_b32 v29, 0xffff, v19, v60
	v_bfi_b32 v19, 0xffff, v60, v19
	;; [unrolled: 1-line block ×4, first 2 shown]
	v_alignbit_b32 v28, v23, v22, 16
	v_alignbit_b32 v22, v22, v23, 16
	v_bfi_b32 v23, 0xffff, v20, v63
	v_bfi_b32 v20, 0xffff, v63, v20
	ds_write2_b32 v26, v21, v64 offset0:2 offset1:3
	ds_write2_b32 v26, v30, v27 offset0:4 offset1:5
	ds_write2_b32 v26, v61, v19 offset1:1
	ds_write_b32 v26, v29 offset:24
	ds_write2_b32 v25, v28, v59 offset0:2 offset1:3
	ds_write2_b32 v25, v24, v22 offset0:4 offset1:5
	ds_write2_b32 v25, v62, v20 offset1:1
	ds_write_b32 v25, v23 offset:24
	s_waitcnt lgkmcnt(0)
	s_barrier
	buffer_gl0_inv
	ds_read2_b32 v[19:20], v40 offset0:98 offset1:147
	ds_read2_b32 v[21:22], v40 offset0:196 offset1:245
	;; [unrolled: 1-line block ×6, first 2 shown]
	ds_read2_b32 v[63:64], v40 offset1:49
	s_waitcnt lgkmcnt(0)
	s_barrier
	buffer_gl0_inv
	v_mad_u64_u32 v[27:28], null, s30, v12, 0
	v_mad_u64_u32 v[29:30], null, s28, v49, 0
	s_mul_hi_u32 s30, s28, 0x188
	s_add_i32 s30, s30, s2
	v_lshrrev_b32_e32 v65, 16, v19
	v_mul_f16_sdwa v66, v4, v19 dst_sel:DWORD dst_unused:UNUSED_PAD src0_sel:WORD_1 src1_sel:DWORD
	v_lshrrev_b32_e32 v67, 16, v21
	v_mul_f16_sdwa v68, v5, v21 dst_sel:DWORD dst_unused:UNUSED_PAD src0_sel:WORD_1 src1_sel:DWORD
	;; [unrolled: 2-line block ×4, first 2 shown]
	v_lshrrev_b32_e32 v73, 16, v20
	v_lshrrev_b32_e32 v74, 16, v22
	v_lshrrev_b32_e32 v75, 16, v24
	v_mul_f16_sdwa v76, v0, v20 dst_sel:DWORD dst_unused:UNUSED_PAD src0_sel:WORD_1 src1_sel:DWORD
	v_mul_f16_sdwa v77, v1, v22 dst_sel:DWORD dst_unused:UNUSED_PAD src0_sel:WORD_1 src1_sel:DWORD
	v_lshrrev_b32_e32 v78, 16, v26
	v_mul_f16_sdwa v79, v2, v24 dst_sel:DWORD dst_unused:UNUSED_PAD src0_sel:WORD_1 src1_sel:DWORD
	v_mul_f16_sdwa v80, v3, v26 dst_sel:DWORD dst_unused:UNUSED_PAD src0_sel:WORD_1 src1_sel:DWORD
	v_lshrrev_b32_e32 v81, 16, v59
	v_mul_f16_sdwa v82, v13, v59 dst_sel:DWORD dst_unused:UNUSED_PAD src0_sel:WORD_1 src1_sel:DWORD
	v_lshrrev_b32_e32 v83, 16, v61
	;; [unrolled: 2-line block ×4, first 2 shown]
	v_mul_f16_sdwa v88, v16, v62 dst_sel:DWORD dst_unused:UNUSED_PAD src0_sel:WORD_1 src1_sel:DWORD
	v_fma_f16 v66, v4, v65, -v66
	v_mul_f16_sdwa v65, v4, v65 dst_sel:DWORD dst_unused:UNUSED_PAD src0_sel:WORD_1 src1_sel:DWORD
	v_fma_f16 v68, v5, v67, -v68
	;; [unrolled: 2-line block ×4, first 2 shown]
	v_mul_f16_sdwa v71, v7, v71 dst_sel:DWORD dst_unused:UNUSED_PAD src0_sel:WORD_1 src1_sel:DWORD
	v_mul_f16_sdwa v89, v0, v73 dst_sel:DWORD dst_unused:UNUSED_PAD src0_sel:WORD_1 src1_sel:DWORD
	;; [unrolled: 1-line block ×3, first 2 shown]
	v_fma_f16 v73, v0, v73, -v76
	v_mul_f16_sdwa v76, v2, v75 dst_sel:DWORD dst_unused:UNUSED_PAD src0_sel:WORD_1 src1_sel:DWORD
	v_fma_f16 v74, v1, v74, -v77
	v_mul_f16_sdwa v77, v3, v78 dst_sel:DWORD dst_unused:UNUSED_PAD src0_sel:WORD_1 src1_sel:DWORD
	v_fma_f16 v75, v2, v75, -v79
	v_fma_f16 v78, v3, v78, -v80
	;; [unrolled: 1-line block ×3, first 2 shown]
	v_mul_f16_sdwa v80, v13, v81 dst_sel:DWORD dst_unused:UNUSED_PAD src0_sel:WORD_1 src1_sel:DWORD
	v_fma_f16 v81, v14, v83, -v84
	v_mul_f16_sdwa v82, v14, v83 dst_sel:DWORD dst_unused:UNUSED_PAD src0_sel:WORD_1 src1_sel:DWORD
	v_mul_f16_sdwa v83, v15, v85 dst_sel:DWORD dst_unused:UNUSED_PAD src0_sel:WORD_1 src1_sel:DWORD
	v_fma_f16 v84, v15, v85, -v86
	v_mul_f16_sdwa v85, v16, v87 dst_sel:DWORD dst_unused:UNUSED_PAD src0_sel:WORD_1 src1_sel:DWORD
	v_fma_f16 v86, v16, v87, -v88
	v_fmac_f16_e32 v65, v4, v19
	v_fmac_f16_e32 v67, v5, v21
	;; [unrolled: 1-line block ×11, first 2 shown]
	v_add_f16_e32 v0, v66, v81
	v_sub_f16_e32 v1, v66, v81
	v_add_f16_e32 v2, v68, v79
	v_sub_f16_e32 v3, v68, v79
	;; [unrolled: 2-line block ×5, first 2 shown]
	v_sub_f16_e32 v16, v78, v75
	v_fmac_f16_e32 v83, v15, v60
	v_add_f16_e32 v15, v75, v78
	v_add_f16_e32 v19, v65, v82
	v_sub_f16_e32 v20, v65, v82
	v_add_f16_e32 v21, v67, v80
	v_sub_f16_e32 v22, v67, v80
	;; [unrolled: 2-line block ×4, first 2 shown]
	v_sub_f16_e32 v0, v0, v4
	v_sub_f16_e32 v2, v4, v2
	v_add_f16_e32 v67, v5, v3
	v_sub_f16_e32 v68, v5, v3
	v_sub_f16_e32 v3, v3, v1
	v_add_f16_e32 v69, v13, v6
	v_add_f16_e32 v71, v16, v14
	v_sub_f16_e32 v72, v16, v14
	v_sub_f16_e32 v14, v14, v7
	v_add_f16_e32 v25, v89, v85
	v_add_f16_e32 v59, v90, v83
	v_sub_f16_e32 v70, v13, v6
	v_sub_f16_e32 v6, v6, v15
	;; [unrolled: 1-line block ×5, first 2 shown]
	v_add_f16_e32 v4, v4, v65
	v_add_f16_e32 v15, v15, v69
	v_add_f16_e32 v7, v71, v7
	v_add_f16_e32 v65, v21, v19
	v_add_f16_e32 v69, v24, v22
	v_sub_f16_e32 v71, v24, v22
	v_mul_f16_e32 v0, 0x3a52, v0
	v_mul_f16_e32 v73, 0x2b26, v2
	;; [unrolled: 1-line block ×6, first 2 shown]
	v_sub_f16_e32 v26, v89, v85
	v_sub_f16_e32 v60, v90, v83
	v_add_f16_e32 v61, v76, v77
	v_sub_f16_e32 v62, v77, v76
	v_add_f16_e32 v1, v67, v1
	v_sub_f16_e32 v67, v21, v19
	v_sub_f16_e32 v19, v19, v23
	;; [unrolled: 1-line block ×4, first 2 shown]
	v_add_f16_e32 v75, v59, v25
	v_mul_f16_e32 v6, 0x3a52, v6
	v_mul_f16_e32 v79, 0x2b26, v13
	v_sub_f16_e32 v24, v20, v24
	v_add_f16_e32 v23, v23, v65
	v_add_f16_e32 v20, v69, v20
	v_fmamk_f16 v2, v2, 0x2b26, v0
	v_fma_f16 v65, v66, 0x39e0, -v73
	v_fma_f16 v0, v66, 0xb9e0, -v0
	;; [unrolled: 1-line block ×3, first 2 shown]
	v_fmamk_f16 v66, v5, 0xb574, v68
	v_fmac_f16_e32 v74, 0x3574, v5
	v_fma_f16 v14, v14, 0xbb00, -v72
	v_fmamk_f16 v68, v16, 0xb574, v72
	v_fmac_f16_e32 v80, 0x3574, v16
	v_mul_f16_e32 v69, 0x3846, v71
	v_add_f16_sdwa v71, v63, v4 dst_sel:DWORD dst_unused:UNUSED_PAD src0_sel:WORD_1 src1_sel:DWORD
	v_add_f16_sdwa v72, v64, v15 dst_sel:DWORD dst_unused:UNUSED_PAD src0_sel:WORD_1 src1_sel:DWORD
	v_sub_f16_e32 v76, v59, v25
	v_sub_f16_e32 v25, v25, v61
	;; [unrolled: 1-line block ×3, first 2 shown]
	v_add_f16_e32 v77, v62, v60
	v_sub_f16_e32 v78, v62, v60
	v_sub_f16_e32 v60, v60, v26
	v_add_f16_e32 v5, v61, v75
	v_fmamk_f16 v13, v13, 0x2b26, v6
	v_fma_f16 v61, v70, 0x39e0, -v79
	v_fma_f16 v6, v70, 0xb9e0, -v6
	v_mul_f16_e32 v16, 0x3a52, v19
	v_mul_f16_e32 v19, 0x2b26, v21
	;; [unrolled: 1-line block ×3, first 2 shown]
	v_fmac_f16_e32 v66, 0xb70e, v1
	v_fmac_f16_e32 v3, 0xb70e, v1
	;; [unrolled: 1-line block ×3, first 2 shown]
	v_add_f16_e32 v1, v63, v23
	v_fmamk_f16 v4, v4, 0xbcab, v71
	v_fmac_f16_e32 v68, 0xb70e, v7
	v_fmac_f16_e32 v14, 0xb70e, v7
	;; [unrolled: 1-line block ×3, first 2 shown]
	v_fmamk_f16 v7, v15, 0xbcab, v72
	v_sub_f16_e32 v62, v26, v62
	v_add_f16_e32 v26, v77, v26
	v_mul_f16_e32 v25, 0x3a52, v25
	v_mul_f16_e32 v73, 0x2b26, v59
	;; [unrolled: 1-line block ×4, first 2 shown]
	v_fmamk_f16 v21, v21, 0x2b26, v16
	v_fma_f16 v19, v67, 0x39e0, -v19
	v_fma_f16 v16, v67, 0xb9e0, -v16
	v_fmamk_f16 v67, v24, 0xb574, v69
	v_fmac_f16_e32 v70, 0x3574, v24
	v_add_f16_e32 v24, v64, v5
	v_add_f16_e32 v2, v2, v4
	;; [unrolled: 1-line block ×7, first 2 shown]
	v_fmamk_f16 v7, v23, 0xbcab, v1
	v_fma_f16 v22, v22, 0xbb00, -v69
	v_fmamk_f16 v59, v59, 0x2b26, v25
	v_fma_f16 v63, v76, 0x39e0, -v73
	v_fma_f16 v25, v76, 0xb9e0, -v25
	;; [unrolled: 1-line block ×3, first 2 shown]
	v_fmamk_f16 v64, v62, 0xb574, v75
	v_fmac_f16_e32 v77, 0x3574, v62
	v_fmamk_f16 v5, v5, 0xbcab, v24
	v_fmac_f16_e32 v67, 0xb70e, v20
	v_add_f16_e32 v21, v21, v7
	v_fmac_f16_e32 v22, 0xb70e, v20
	v_fmac_f16_e32 v70, 0xb70e, v20
	v_add_f16_e32 v19, v19, v7
	v_add_f16_e32 v7, v16, v7
	v_fmac_f16_e32 v64, 0xb70e, v26
	v_fmac_f16_e32 v60, 0xb70e, v26
	;; [unrolled: 1-line block ×3, first 2 shown]
	v_pack_b32_f16 v20, v24, v72
	v_add_f16_e32 v24, v59, v5
	v_add_f16_e32 v26, v63, v5
	;; [unrolled: 1-line block ×3, first 2 shown]
	v_sub_f16_e32 v23, v2, v67
	v_add_f16_e32 v62, v66, v21
	v_add_f16_e32 v16, v22, v15
	v_sub_f16_e32 v15, v15, v22
	v_sub_f16_e32 v22, v0, v70
	;; [unrolled: 1-line block ×3, first 2 shown]
	v_add_f16_e32 v3, v3, v19
	v_add_f16_e32 v19, v74, v7
	;; [unrolled: 1-line block ×3, first 2 shown]
	v_sub_f16_e32 v7, v7, v74
	v_add_f16_e32 v2, v67, v2
	v_sub_f16_e32 v21, v21, v66
	v_add_f16_e32 v25, v60, v13
	v_sub_f16_e32 v13, v13, v60
	v_sub_f16_e32 v59, v6, v77
	v_add_f16_e32 v6, v77, v6
	v_sub_f16_e32 v60, v4, v64
	v_add_f16_e32 v4, v64, v4
	;; [unrolled: 2-line block ×3, first 2 shown]
	v_add_f16_e32 v26, v80, v5
	v_sub_f16_e32 v5, v5, v80
	v_add_f16_e32 v64, v68, v24
	v_sub_f16_e32 v24, v24, v68
	v_pack_b32_f16 v1, v1, v71
	v_pack_b32_f16 v23, v62, v23
	v_pack_b32_f16 v19, v19, v22
	v_pack_b32_f16 v16, v61, v16
	v_pack_b32_f16 v3, v3, v15
	v_pack_b32_f16 v0, v7, v0
	v_pack_b32_f16 v2, v21, v2
	v_pack_b32_f16 v7, v64, v60
	v_pack_b32_f16 v13, v14, v13
	v_pack_b32_f16 v5, v5, v6
	v_pack_b32_f16 v4, v24, v4
	v_pack_b32_f16 v15, v26, v59
	v_pack_b32_f16 v21, v63, v25
	ds_write2_b32 v58, v1, v23 offset1:7
	ds_write2_b32 v58, v19, v16 offset0:14 offset1:21
	ds_write2_b32 v58, v3, v0 offset0:28 offset1:35
	ds_write_b32 v58, v2 offset:168
	ds_write2_b32 v57, v20, v7 offset1:7
	ds_write2_b32 v57, v15, v21 offset0:14 offset1:21
	ds_write2_b32 v57, v13, v5 offset0:28 offset1:35
	ds_write_b32 v57, v4 offset:168
	s_waitcnt lgkmcnt(0)
	s_barrier
	buffer_gl0_inv
	ds_read2_b32 v[2:3], v40 offset0:98 offset1:147
	ds_read2_b32 v[4:5], v40 offset0:196 offset1:245
	;; [unrolled: 1-line block ×6, first 2 shown]
	ds_read2_b32 v[23:24], v40 offset1:49
	v_mov_b32_e32 v0, v28
	v_mov_b32_e32 v1, v30
	s_waitcnt lgkmcnt(0)
	s_barrier
	buffer_gl0_inv
	v_mad_u64_u32 v[15:16], null, s31, v12, v[0:1]
	s_mul_i32 s31, s28, 0x188
	v_mad_u64_u32 v[0:1], null, s29, v49, v[1:2]
	v_lshrrev_b32_e32 v1, 16, v2
	v_lshrrev_b32_e32 v12, 16, v4
	v_lshrrev_b32_e32 v16, 16, v6
	v_lshrrev_b32_e32 v25, 16, v13
	v_lshrrev_b32_e32 v26, 16, v3
	v_lshrrev_b32_e32 v28, 16, v5
	v_lshrrev_b32_e32 v30, 16, v7
	v_lshrrev_b32_e32 v49, 16, v14
	v_mul_f16_sdwa v57, v8, v2 dst_sel:DWORD dst_unused:UNUSED_PAD src0_sel:WORD_1 src1_sel:DWORD
	v_mul_f16_sdwa v58, v9, v4 dst_sel:DWORD dst_unused:UNUSED_PAD src0_sel:WORD_1 src1_sel:DWORD
	;; [unrolled: 1-line block ×8, first 2 shown]
	v_lshrrev_b32_e32 v65, 16, v19
	v_lshrrev_b32_e32 v66, 16, v21
	;; [unrolled: 1-line block ×4, first 2 shown]
	v_mul_f16_sdwa v69, v17, v19 dst_sel:DWORD dst_unused:UNUSED_PAD src0_sel:WORD_1 src1_sel:DWORD
	v_mul_f16_sdwa v70, v18, v21 dst_sel:DWORD dst_unused:UNUSED_PAD src0_sel:WORD_1 src1_sel:DWORD
	;; [unrolled: 1-line block ×8, first 2 shown]
	v_fma_f16 v1, v8, v1, -v57
	v_fma_f16 v12, v9, v12, -v58
	;; [unrolled: 1-line block ×4, first 2 shown]
	v_mul_f16_sdwa v16, v10, v16 dst_sel:DWORD dst_unused:UNUSED_PAD src0_sel:WORD_1 src1_sel:DWORD
	v_fma_f16 v28, v9, v28, -v61
	v_mul_f16_sdwa v58, v10, v30 dst_sel:DWORD dst_unused:UNUSED_PAD src0_sel:WORD_1 src1_sel:DWORD
	v_fma_f16 v59, v11, v25, -v63
	;; [unrolled: 2-line block ×8, first 2 shown]
	v_fmac_f16_e32 v73, v8, v2
	v_fmac_f16_e32 v74, v8, v3
	;; [unrolled: 1-line block ×9, first 2 shown]
	v_add_f16_e32 v2, v1, v64
	v_sub_f16_e32 v1, v1, v64
	v_add_f16_e32 v3, v12, v62
	v_sub_f16_e32 v4, v12, v62
	;; [unrolled: 2-line block ×3, first 2 shown]
	v_add_f16_e32 v7, v26, v68
	v_add_f16_e32 v9, v28, v66
	v_sub_f16_e32 v10, v28, v66
	v_sub_f16_e32 v12, v49, v30
	v_fmac_f16_e32 v60, v11, v14
	v_fmac_f16_e32 v65, v17, v20
	;; [unrolled: 1-line block ×3, first 2 shown]
	v_sub_f16_e32 v8, v26, v68
	v_add_f16_e32 v11, v30, v49
	v_add_f16_e32 v13, v73, v63
	;; [unrolled: 1-line block ×3, first 2 shown]
	v_sub_f16_e32 v18, v75, v61
	v_add_f16_e32 v19, v16, v25
	v_sub_f16_e32 v16, v25, v16
	v_add_f16_e32 v20, v3, v2
	v_sub_f16_e32 v21, v3, v2
	v_sub_f16_e32 v2, v2, v5
	;; [unrolled: 1-line block ×3, first 2 shown]
	v_add_f16_e32 v22, v6, v4
	v_sub_f16_e32 v25, v6, v4
	v_sub_f16_e32 v4, v4, v1
	v_add_f16_e32 v59, v9, v7
	v_add_f16_e32 v61, v12, v10
	v_sub_f16_e32 v14, v73, v63
	v_add_f16_e32 v26, v74, v67
	v_add_f16_e32 v30, v76, v65
	v_sub_f16_e32 v49, v76, v65
	v_add_f16_e32 v57, v58, v60
	v_sub_f16_e32 v58, v60, v58
	v_sub_f16_e32 v60, v9, v7
	;; [unrolled: 1-line block ×8, first 2 shown]
	v_add_f16_e32 v5, v5, v20
	v_add_f16_e32 v20, v17, v13
	;; [unrolled: 1-line block ×5, first 2 shown]
	v_sub_f16_e32 v61, v16, v18
	v_mul_f16_e32 v2, 0x3a52, v2
	v_mul_f16_e32 v63, 0x2b26, v3
	;; [unrolled: 1-line block ×4, first 2 shown]
	v_sub_f16_e32 v28, v74, v67
	v_add_f16_e32 v1, v22, v1
	v_sub_f16_e32 v22, v17, v13
	v_sub_f16_e32 v13, v13, v19
	;; [unrolled: 1-line block ×4, first 2 shown]
	v_add_f16_e32 v65, v30, v26
	v_add_f16_e32 v67, v58, v49
	v_mul_f16_e32 v7, 0x3a52, v7
	v_mul_f16_e32 v69, 0x2b26, v9
	;; [unrolled: 1-line block ×4, first 2 shown]
	v_sub_f16_e32 v16, v14, v16
	v_add_f16_e32 v19, v19, v20
	v_add_f16_e32 v14, v59, v14
	v_fmamk_f16 v3, v3, 0x2b26, v2
	v_fma_f16 v20, v21, 0x39e0, -v63
	v_fma_f16 v2, v21, 0xb9e0, -v2
	v_fma_f16 v4, v4, 0xbb00, -v25
	v_fmamk_f16 v21, v6, 0xb574, v25
	v_fmac_f16_e32 v64, 0x3574, v6
	v_mul_f16_e32 v59, 0x3846, v61
	v_add_f16_sdwa v61, v23, v5 dst_sel:DWORD dst_unused:UNUSED_PAD src0_sel:WORD_1 src1_sel:DWORD
	v_sub_f16_e32 v66, v30, v26
	v_sub_f16_e32 v26, v26, v57
	;; [unrolled: 1-line block ×6, first 2 shown]
	v_add_f16_e32 v6, v57, v65
	v_add_f16_e32 v25, v67, v28
	v_fmamk_f16 v9, v9, 0x2b26, v7
	v_fma_f16 v28, v60, 0x39e0, -v69
	v_fma_f16 v7, v60, 0xb9e0, -v7
	v_fmamk_f16 v57, v12, 0xb574, v62
	v_fmac_f16_e32 v70, 0x3574, v12
	v_mul_f16_e32 v12, 0x3a52, v13
	v_mul_f16_e32 v13, 0x2b26, v17
	;; [unrolled: 1-line block ×3, first 2 shown]
	v_fma_f16 v10, v10, 0xbb00, -v62
	v_add_f16_sdwa v62, v24, v11 dst_sel:DWORD dst_unused:UNUSED_PAD src0_sel:WORD_1 src1_sel:DWORD
	v_fmac_f16_e32 v21, 0xb70e, v1
	v_fmac_f16_e32 v4, 0xb70e, v1
	;; [unrolled: 1-line block ×3, first 2 shown]
	v_add_f16_e32 v1, v23, v19
	v_fmamk_f16 v5, v5, 0xbcab, v61
	v_mul_f16_e32 v26, 0x3a52, v26
	v_mul_f16_e32 v63, 0x2b26, v30
	;; [unrolled: 1-line block ×4, first 2 shown]
	v_fmamk_f16 v17, v17, 0x2b26, v12
	v_fma_f16 v13, v22, 0x39e0, -v13
	v_fma_f16 v12, v22, 0xb9e0, -v12
	;; [unrolled: 1-line block ×3, first 2 shown]
	v_fmamk_f16 v22, v16, 0xb574, v59
	v_fmac_f16_e32 v60, 0x3574, v16
	v_add_f16_e32 v16, v24, v6
	v_fmac_f16_e32 v57, 0xb70e, v8
	v_fmac_f16_e32 v10, 0xb70e, v8
	;; [unrolled: 1-line block ×3, first 2 shown]
	v_fmamk_f16 v8, v11, 0xbcab, v62
	v_add_f16_e32 v3, v3, v5
	v_add_f16_e32 v11, v20, v5
	;; [unrolled: 1-line block ×3, first 2 shown]
	v_fmamk_f16 v5, v19, 0xbcab, v1
	v_fmamk_f16 v23, v30, 0x2b26, v26
	v_fma_f16 v24, v66, 0x39e0, -v63
	v_fma_f16 v26, v66, 0xb9e0, -v26
	;; [unrolled: 1-line block ×3, first 2 shown]
	v_fmamk_f16 v49, v58, 0xb574, v65
	v_fmac_f16_e32 v67, 0x3574, v58
	v_fmac_f16_e32 v18, 0xb70e, v14
	v_fmamk_f16 v6, v6, 0xbcab, v16
	v_fmac_f16_e32 v22, 0xb70e, v14
	v_fmac_f16_e32 v60, 0xb70e, v14
	v_add_f16_e32 v9, v9, v8
	v_add_f16_e32 v14, v28, v8
	;; [unrolled: 1-line block ×3, first 2 shown]
	v_pack_b32_f16 v8, v16, v62
	v_add_f16_e32 v16, v17, v5
	v_add_f16_e32 v13, v13, v5
	;; [unrolled: 1-line block ×3, first 2 shown]
	v_fmac_f16_e32 v49, 0xb70e, v25
	v_fmac_f16_e32 v67, 0xb70e, v25
	v_add_f16_e32 v19, v18, v11
	v_sub_f16_e32 v11, v11, v18
	v_add_f16_e32 v18, v23, v6
	v_add_f16_e32 v20, v24, v6
	;; [unrolled: 1-line block ×3, first 2 shown]
	v_fmac_f16_e32 v30, 0xb70e, v25
	v_sub_f16_e32 v12, v3, v22
	v_add_f16_e32 v25, v21, v16
	v_sub_f16_e32 v17, v2, v60
	v_add_f16_e32 v26, v64, v5
	;; [unrolled: 2-line block ×3, first 2 shown]
	v_add_f16_e32 v4, v4, v13
	v_sub_f16_e32 v5, v5, v64
	v_add_f16_e32 v3, v22, v3
	v_sub_f16_e32 v13, v16, v21
	v_sub_f16_e32 v22, v9, v49
	;; [unrolled: 1-line block ×3, first 2 shown]
	v_add_f16_e32 v7, v67, v7
	v_add_f16_e32 v9, v49, v9
	;; [unrolled: 1-line block ×4, first 2 shown]
	v_sub_f16_e32 v6, v6, v70
	v_sub_f16_e32 v18, v18, v57
	v_pack_b32_f16 v1, v1, v61
	v_add_f16_e32 v24, v30, v14
	v_sub_f16_e32 v14, v14, v30
	v_sub_f16_e32 v30, v20, v10
	v_add_f16_e32 v10, v10, v20
	v_pack_b32_f16 v12, v25, v12
	v_pack_b32_f16 v17, v26, v17
	;; [unrolled: 1-line block ×12, first 2 shown]
	ds_write2_b32 v40, v1, v12 offset1:49
	ds_write2_b32 v40, v17, v19 offset0:98 offset1:147
	ds_write2_b32 v40, v4, v2 offset0:196 offset1:245
	;; [unrolled: 1-line block ×6, first 2 shown]
	s_waitcnt lgkmcnt(0)
	s_barrier
	buffer_gl0_inv
	ds_read2_b32 v[3:4], v40 offset1:49
	ds_read2_b32 v[1:2], v46 offset0:38 offset1:87
	ds_read2_b32 v[7:8], v46 offset0:136 offset1:185
	;; [unrolled: 1-line block ×5, first 2 shown]
	v_mov_b32_e32 v28, v15
	ds_read2_b32 v[15:16], v48 offset0:76 offset1:125
	v_mov_b32_e32 v30, v0
	v_lshlrev_b64 v[13:14], 2, v[27:28]
	v_lshlrev_b64 v[17:18], 2, v[29:30]
	v_add_co_u32 v0, vcc_lo, s0, v13
	v_add_co_ci_u32_e32 v19, vcc_lo, s1, v14, vcc_lo
	s_waitcnt lgkmcnt(6)
	v_lshrrev_b32_e32 v13, 16, v3
	s_waitcnt lgkmcnt(5)
	v_lshrrev_b32_e32 v14, 16, v2
	;; [unrolled: 2-line block ×3, first 2 shown]
	v_mul_f16_sdwa v49, v51, v7 dst_sel:DWORD dst_unused:UNUSED_PAD src0_sel:WORD_1 src1_sel:DWORD
	v_lshrrev_b32_e32 v23, 16, v8
	s_waitcnt lgkmcnt(2)
	v_lshrrev_b32_e32 v25, 16, v9
	v_mul_f16_sdwa v58, v56, v2 dst_sel:DWORD dst_unused:UNUSED_PAD src0_sel:WORD_1 src1_sel:DWORD
	v_lshrrev_b32_e32 v27, 16, v10
	s_waitcnt lgkmcnt(0)
	v_lshrrev_b32_e32 v29, 16, v15
	v_mul_f16_sdwa v59, v52, v8 dst_sel:DWORD dst_unused:UNUSED_PAD src0_sel:WORD_1 src1_sel:DWORD
	v_mul_f16_sdwa v60, v50, v9 dst_sel:DWORD dst_unused:UNUSED_PAD src0_sel:WORD_1 src1_sel:DWORD
	v_lshrrev_b32_e32 v57, 16, v16
	v_mul_f16_sdwa v61, v53, v10 dst_sel:DWORD dst_unused:UNUSED_PAD src0_sel:WORD_1 src1_sel:DWORD
	v_mul_f16_sdwa v64, v51, v21 dst_sel:DWORD dst_unused:UNUSED_PAD src0_sel:WORD_1 src1_sel:DWORD
	v_fma_f16 v21, v51, v21, -v49
	v_mul_f16_sdwa v49, v56, v14 dst_sel:DWORD dst_unused:UNUSED_PAD src0_sel:WORD_1 src1_sel:DWORD
	v_mul_f16_sdwa v65, v52, v23 dst_sel:DWORD dst_unused:UNUSED_PAD src0_sel:WORD_1 src1_sel:DWORD
	v_fma_f16 v14, v56, v14, -v58
	;; [unrolled: 3-line block ×3, first 2 shown]
	v_fma_f16 v25, v50, v25, -v60
	v_mul_f16_sdwa v59, v53, v27 dst_sel:DWORD dst_unused:UNUSED_PAD src0_sel:WORD_1 src1_sel:DWORD
	v_mul_f16_sdwa v60, v54, v29 dst_sel:DWORD dst_unused:UNUSED_PAD src0_sel:WORD_1 src1_sel:DWORD
	v_lshrrev_b32_e32 v20, 16, v4
	v_mul_f16_sdwa v63, v55, v16 dst_sel:DWORD dst_unused:UNUSED_PAD src0_sel:WORD_1 src1_sel:DWORD
	v_fma_f16 v27, v53, v27, -v61
	v_mul_f16_sdwa v61, v55, v57 dst_sel:DWORD dst_unused:UNUSED_PAD src0_sel:WORD_1 src1_sel:DWORD
	v_fmac_f16_e32 v64, v51, v7
	v_fmac_f16_e32 v49, v56, v2
	v_lshrrev_b32_e32 v22, 16, v5
	v_lshrrev_b32_e32 v24, 16, v6
	v_fmac_f16_e32 v65, v52, v8
	v_fmac_f16_e32 v58, v50, v9
	v_lshrrev_b32_e32 v26, 16, v11
	v_lshrrev_b32_e32 v28, 16, v12
	v_fma_f16 v29, v54, v29, -v62
	v_fmac_f16_e32 v59, v53, v10
	v_fmac_f16_e32 v60, v54, v15
	v_lshrrev_b32_e32 v30, 16, v1
	v_fma_f16 v57, v55, v57, -v63
	v_fmac_f16_e32 v61, v55, v16
	v_sub_f16_e32 v2, v13, v14
	v_sub_f16_e32 v7, v20, v21
	;; [unrolled: 1-line block ×13, first 2 shown]
	v_fma_f16 v13, v13, 2.0, -v2
	v_fma_f16 v20, v20, 2.0, -v7
	v_sub_f16_e32 v49, v1, v61
	v_fma_f16 v3, v3, 2.0, -v16
	v_fma_f16 v4, v4, 2.0, -v21
	v_pack_b32_f16 v2, v16, v2
	v_fma_f16 v22, v22, 2.0, -v8
	v_fma_f16 v24, v24, 2.0, -v9
	;; [unrolled: 1-line block ×10, first 2 shown]
	v_pack_b32_f16 v3, v3, v13
	ds_write_b32 v40, v2 offset:1372
	v_pack_b32_f16 v2, v4, v20
	v_pack_b32_f16 v7, v21, v7
	;; [unrolled: 1-line block ×12, first 2 shown]
	ds_write2_b32 v40, v3, v2 offset1:49
	ds_write2_b32 v46, v7, v8 offset0:136 offset1:185
	ds_write2_b32 v40, v4, v5 offset0:98 offset1:147
	;; [unrolled: 1-line block ×4, first 2 shown]
	ds_write_b32 v40, v1 offset:1176
	ds_write2_b32 v48, v14, v15 offset0:76 offset1:125
	s_waitcnt lgkmcnt(0)
	s_barrier
	buffer_gl0_inv
	ds_read2_b32 v[12:13], v40 offset1:49
	ds_read2_b32 v[10:11], v40 offset0:98 offset1:147
	ds_read2_b32 v[8:9], v40 offset0:196 offset1:245
	v_add_co_u32 v14, vcc_lo, v0, v17
	ds_read2_b32 v[6:7], v46 offset0:38 offset1:87
	ds_read2_b32 v[4:5], v46 offset0:136 offset1:185
	ds_read2_b32 v[2:3], v47 offset0:106 offset1:155
	ds_read2_b32 v[0:1], v48 offset0:76 offset1:125
	v_add_co_ci_u32_e32 v15, vcc_lo, v19, v18, vcc_lo
	v_add_co_u32 v16, vcc_lo, v14, s31
	v_add_co_ci_u32_e32 v17, vcc_lo, s30, v15, vcc_lo
	v_add_co_u32 v20, vcc_lo, v16, s31
	v_add_co_ci_u32_e32 v21, vcc_lo, s30, v17, vcc_lo
	s_waitcnt lgkmcnt(6)
	v_lshrrev_b32_e32 v18, 16, v12
	v_mul_f16_sdwa v19, v37, v12 dst_sel:DWORD dst_unused:UNUSED_PAD src0_sel:WORD_1 src1_sel:DWORD
	s_waitcnt lgkmcnt(4)
	v_lshrrev_b32_e32 v24, 16, v8
	v_mul_f16_sdwa v25, v39, v8 dst_sel:DWORD dst_unused:UNUSED_PAD src0_sel:WORD_1 src1_sel:DWORD
	;; [unrolled: 3-line block ×4, first 2 shown]
	v_fma_f16 v19, v37, v18, -v19
	v_fma_f16 v25, v39, v24, -v25
	v_lshrrev_b32_e32 v28, 16, v4
	v_mul_f16_sdwa v29, v42, v4 dst_sel:DWORD dst_unused:UNUSED_PAD src0_sel:WORD_1 src1_sel:DWORD
	v_fma_f16 v27, v41, v26, -v27
	v_fma_f16 v55, v45, v46, -v47
	v_mul_f16_sdwa v47, v37, v18 dst_sel:DWORD dst_unused:UNUSED_PAD src0_sel:WORD_1 src1_sel:DWORD
	v_mul_f16_sdwa v49, v39, v24 dst_sel:DWORD dst_unused:UNUSED_PAD src0_sel:WORD_1 src1_sel:DWORD
	v_cvt_f32_f16_e32 v18, v19
	v_cvt_f32_f16_e32 v24, v25
	v_fma_f16 v29, v42, v28, -v29
	v_mul_f16_sdwa v50, v41, v26 dst_sel:DWORD dst_unused:UNUSED_PAD src0_sel:WORD_1 src1_sel:DWORD
	v_cvt_f32_f16_e32 v26, v27
	v_cvt_f64_f32_e32 v[18:19], v18
	v_cvt_f64_f32_e32 v[24:25], v24
	v_lshrrev_b32_e32 v30, 16, v2
	v_mul_f16_sdwa v40, v43, v2 dst_sel:DWORD dst_unused:UNUSED_PAD src0_sel:WORD_1 src1_sel:DWORD
	v_mul_f16_sdwa v51, v42, v28 dst_sel:DWORD dst_unused:UNUSED_PAD src0_sel:WORD_1 src1_sel:DWORD
	v_cvt_f32_f16_e32 v28, v29
	v_cvt_f64_f32_e32 v[26:27], v26
	v_mul_f16_sdwa v46, v45, v46 dst_sel:DWORD dst_unused:UNUSED_PAD src0_sel:WORD_1 src1_sel:DWORD
	v_lshrrev_b32_e32 v22, 16, v10
	v_mul_f16_sdwa v23, v38, v10 dst_sel:DWORD dst_unused:UNUSED_PAD src0_sel:WORD_1 src1_sel:DWORD
	v_fma_f16 v40, v43, v30, -v40
	v_cvt_f64_f32_e32 v[28:29], v28
	v_fmac_f16_e32 v46, v45, v0
	v_mul_f16_sdwa v48, v38, v22 dst_sel:DWORD dst_unused:UNUSED_PAD src0_sel:WORD_1 src1_sel:DWORD
	v_fma_f16 v23, v38, v22, -v23
	v_cvt_f32_f16_e32 v40, v40
	v_fmac_f16_e32 v47, v37, v12
	v_cvt_f32_f16_e32 v12, v46
	v_mul_f16_sdwa v30, v43, v30 dst_sel:DWORD dst_unused:UNUSED_PAD src0_sel:WORD_1 src1_sel:DWORD
	v_cvt_f32_f16_e32 v22, v23
	v_fmac_f16_e32 v48, v38, v10
	v_cvt_f64_f32_e32 v[37:38], v40
	v_cvt_f32_f16_e32 v0, v47
	v_cvt_f64_f32_e32 v[53:54], v12
	v_mul_f64 v[18:19], v[18:19], s[26:27]
	v_mul_f64 v[24:25], v[24:25], s[26:27]
	v_cvt_f64_f32_e32 v[22:23], v22
	v_fmac_f16_e32 v49, v39, v8
	v_fmac_f16_e32 v50, v41, v6
	;; [unrolled: 1-line block ×3, first 2 shown]
	v_cvt_f32_f16_e32 v2, v48
	v_cvt_f64_f32_e32 v[39:40], v0
	v_mul_f64 v[26:27], v[26:27], s[26:27]
	v_fmac_f16_e32 v51, v42, v4
	v_cvt_f32_f16_e32 v4, v49
	v_cvt_f32_f16_e32 v6, v50
	v_cvt_f64_f32_e32 v[41:42], v2
	v_mul_f64 v[28:29], v[28:29], s[26:27]
	v_lshrrev_b32_e32 v57, 16, v13
	v_cvt_f32_f16_e32 v8, v51
	v_cvt_f64_f32_e32 v[45:46], v4
	v_cvt_f64_f32_e32 v[47:48], v6
	v_cvt_f32_f16_e32 v10, v30
	v_mul_f16_sdwa v59, v44, v57 dst_sel:DWORD dst_unused:UNUSED_PAD src0_sel:WORD_1 src1_sel:DWORD
	v_cvt_f64_f32_e32 v[49:50], v8
	v_mul_f64 v[37:38], v[37:38], s[26:27]
	v_mul_f16_sdwa v58, v44, v13 dst_sel:DWORD dst_unused:UNUSED_PAD src0_sel:WORD_1 src1_sel:DWORD
	v_cvt_f64_f32_e32 v[51:52], v10
	v_fmac_f16_e32 v59, v44, v13
	v_mul_f64 v[12:13], v[53:54], s[26:27]
	v_and_or_b32 v53, 0x1ff, v19, v18
	v_and_or_b32 v18, 0x1ff, v25, v24
	v_cvt_f32_f16_e32 v0, v55
	v_mul_f64 v[55:56], v[22:23], s[26:27]
	v_add_co_u32 v22, vcc_lo, v20, s31
	v_mul_f64 v[39:40], v[39:40], s[26:27]
	v_add_co_ci_u32_e32 v23, vcc_lo, s30, v21, vcc_lo
	v_and_or_b32 v26, 0x1ff, v27, v26
	v_cmp_ne_u32_e32 vcc_lo, 0, v18
	v_mul_f64 v[41:42], v[41:42], s[26:27]
	v_and_or_b32 v28, 0x1ff, v29, v28
	v_mul_f64 v[45:46], v[45:46], s[26:27]
	v_mul_f64 v[47:48], v[47:48], s[26:27]
	v_cndmask_b32_e64 v18, 0, 1, vcc_lo
	v_cmp_ne_u32_e32 vcc_lo, 0, v26
	v_lshrrev_b32_e32 v24, 8, v25
	v_bfe_u32 v61, v25, 20, 11
	v_mul_f64 v[49:50], v[49:50], s[26:27]
	v_fma_f16 v30, v44, v57, -v58
	v_cndmask_b32_e64 v26, 0, 1, vcc_lo
	v_cmp_ne_u32_e32 vcc_lo, 0, v28
	v_lshrrev_b32_e32 v54, 8, v19
	v_bfe_u32 v58, v19, 20, 11
	v_lshrrev_b32_e32 v62, 8, v27
	v_bfe_u32 v63, v27, 20, 11
	v_lshrrev_b32_e32 v64, 8, v29
	v_bfe_u32 v65, v29, 20, 11
	v_and_or_b32 v37, 0x1ff, v38, v37
	v_bfe_u32 v67, v38, 20, 11
	v_lshrrev_b32_e32 v10, 16, v19
	v_lshrrev_b32_e32 v4, 16, v27
	v_sub_nc_u32_e32 v19, 0x3f1, v61
	v_cndmask_b32_e64 v27, 0, 1, vcc_lo
	v_and_or_b32 v77, 0xffe, v24, v18
	v_mul_f64 v[51:52], v[51:52], s[26:27]
	v_cvt_f64_f32_e32 v[43:44], v0
	v_lshrrev_b32_e32 v66, 8, v38
	v_lshrrev_b32_e32 v6, 16, v25
	;; [unrolled: 1-line block ×3, first 2 shown]
	v_sub_nc_u32_e32 v25, 0x3f1, v63
	v_sub_nc_u32_e32 v28, 0x3f1, v65
	v_cmp_ne_u32_e32 vcc_lo, 0, v37
	v_sub_nc_u32_e32 v37, 0x3f1, v67
	v_and_or_b32 v38, 0x1ff, v40, v39
	v_med3_i32 v18, v19, 0, 13
	v_and_or_b32 v62, 0xffe, v62, v26
	v_or_b32_e32 v24, 0x1000, v77
	v_and_or_b32 v64, 0xffe, v64, v27
	v_lshrrev_b32_e32 v2, 16, v29
	v_cndmask_b32_e64 v29, 0, 1, vcc_lo
	v_and_or_b32 v41, 0x1ff, v42, v41
	v_med3_i32 v19, v25, 0, 13
	v_med3_i32 v25, v28, 0, 13
	;; [unrolled: 1-line block ×3, first 2 shown]
	v_lshrrev_b32_e32 v37, v18, v24
	v_or_b32_e32 v27, 0x1000, v62
	v_cmp_ne_u32_e32 vcc_lo, 0, v38
	v_or_b32_e32 v38, 0x1000, v64
	v_and_or_b32 v45, 0x1ff, v46, v45
	v_and_or_b32 v47, 0x1ff, v48, v47
	v_lshlrev_b32_e32 v18, v18, v37
	v_cndmask_b32_e64 v28, 0, 1, vcc_lo
	v_lshrrev_b32_e32 v79, v19, v27
	v_cmp_ne_u32_e32 vcc_lo, 0, v41
	v_lshrrev_b32_e32 v80, v25, v38
	v_cvt_f32_f16_e32 v57, v59
	v_and_or_b32 v55, 0x1ff, v56, v55
	v_lshrrev_b32_e32 v59, 8, v56
	v_bfe_u32 v60, v56, 20, 11
	v_lshrrev_b32_e32 v8, 16, v56
	v_lshrrev_b32_e32 v39, 8, v40
	v_bfe_u32 v56, v40, 20, 11
	v_and_or_b32 v49, 0x1ff, v50, v49
	v_and_or_b32 v66, 0xffe, v66, v29
	v_cndmask_b32_e64 v41, 0, 1, vcc_lo
	v_cmp_ne_u32_e32 vcc_lo, v18, v24
	v_lshlrev_b32_e32 v18, v19, v79
	v_cmp_ne_u32_e64 s0, 0, v45
	v_lshlrev_b32_e32 v25, v25, v80
	v_cmp_ne_u32_e64 s1, 0, v47
	v_lshrrev_b32_e32 v68, 8, v42
	v_bfe_u32 v69, v42, 20, 11
	v_and_or_b32 v51, 0x1ff, v52, v51
	v_sub_nc_u32_e32 v29, 0x3f1, v56
	v_cndmask_b32_e64 v24, 0, 1, s0
	v_cmp_ne_u32_e64 s0, v18, v27
	v_cndmask_b32_e64 v27, 0, 1, s1
	v_cmp_ne_u32_e64 s1, v25, v38
	v_or_b32_e32 v25, 0x1000, v66
	v_cmp_ne_u32_e64 s2, 0, v49
	v_and_or_b32 v39, 0xffe, v39, v28
	v_lshrrev_b32_e32 v70, 8, v46
	v_bfe_u32 v71, v46, 20, 11
	v_sub_nc_u32_e32 v19, 0x3f1, v69
	v_and_or_b32 v41, 0xffe, v68, v41
	v_cndmask_b32_e64 v38, 0, 1, s2
	v_lshrrev_b32_e32 v49, v26, v25
	v_cmp_ne_u32_e64 s2, 0, v51
	v_med3_i32 v29, v29, 0, 13
	v_or_b32_e32 v51, 0x1000, v39
	v_lshrrev_b32_e32 v72, 8, v48
	v_bfe_u32 v73, v48, 20, 11
	v_sub_nc_u32_e32 v18, 0x3f1, v71
	v_med3_i32 v19, v19, 0, 13
	v_and_or_b32 v68, 0xffe, v70, v24
	v_or_b32_e32 v24, 0x1000, v41
	v_lshlrev_b32_e32 v26, v26, v49
	v_lshrrev_b32_e32 v70, v29, v51
	v_lshrrev_b32_e32 v74, 8, v50
	v_bfe_u32 v75, v50, 20, 11
	v_sub_nc_u32_e32 v45, 0x3f1, v73
	v_med3_i32 v18, v18, 0, 13
	v_and_or_b32 v72, 0xffe, v72, v27
	v_lshrrev_b32_e32 v81, v19, v24
	v_or_b32_e32 v27, 0x1000, v68
	v_cndmask_b32_e64 v28, 0, 1, s2
	v_cmp_ne_u32_e64 s2, v26, v25
	v_lshlrev_b32_e32 v26, v29, v70
	v_lshrrev_b32_e32 v76, 8, v52
	v_bfe_u32 v78, v52, 20, 11
	v_sub_nc_u32_e32 v47, 0x3f1, v75
	v_and_or_b32 v38, 0xffe, v74, v38
	v_med3_i32 v29, v45, 0, 13
	v_lshlrev_b32_e32 v19, v19, v81
	v_lshrrev_b32_e32 v45, v18, v27
	v_cmp_ne_u32_e64 s3, v26, v51
	v_or_b32_e32 v26, 0x1000, v72
	v_sub_nc_u32_e32 v25, 0x3f1, v78
	v_med3_i32 v47, v47, 0, 13
	v_cmp_ne_u32_e64 s4, v19, v24
	v_or_b32_e32 v19, 0x1000, v38
	v_lshlrev_b32_e32 v18, v18, v45
	v_and_or_b32 v74, 0xffe, v76, v28
	v_lshrrev_b32_e32 v51, v29, v26
	v_and_or_b32 v12, 0x1ff, v13, v12
	v_med3_i32 v24, v25, 0, 13
	v_lshrrev_b32_e32 v76, v47, v19
	v_cmp_ne_u32_e64 s5, v18, v27
	v_or_b32_e32 v27, 0x1000, v74
	v_lshlrev_b32_e32 v25, v29, v51
	v_cmp_ne_u32_e64 s7, 0, v12
	v_lshlrev_b32_e32 v18, v47, v76
	v_bfe_u32 v82, v13, 20, 11
	v_lshrrev_b32_e32 v47, v24, v27
	v_cmp_ne_u32_e64 s6, v25, v26
	v_lshrrev_b32_e32 v26, 8, v13
	v_cndmask_b32_e64 v12, 0, 1, s7
	v_sub_nc_u32_e32 v29, 0x3f1, v82
	v_lshlrev_b32_e32 v28, v24, v47
	v_mul_f64 v[24:25], v[43:44], s[26:27]
	v_cmp_ne_u32_e64 s10, 0, v55
	v_and_or_b32 v12, 0xffe, v26, v12
	v_add_co_u32 v26, s9, v22, s31
	v_cmp_ne_u32_e64 s8, v28, v27
	v_add_co_ci_u32_e64 v27, s9, s30, v23, s9
	v_med3_i32 v43, v29, 0, 13
	v_or_b32_e32 v44, 0x1000, v12
	v_cmp_ne_u32_e64 s9, 0, v53
	v_cvt_f32_f16_e32 v28, v30
	v_cmp_ne_u32_e64 s7, v18, v19
	v_cvt_f64_f32_e32 v[18:19], v57
	v_lshrrev_b32_e32 v53, v43, v44
	v_cndmask_b32_e64 v30, 0, 1, s9
	v_cndmask_b32_e64 v55, 0, 1, s10
	v_add_nc_u32_e32 v71, 0xfffffc10, v71
	v_cmp_ne_u32_e64 s21, 0, v77
	v_lshlrev_b32_e32 v43, v43, v53
	v_and_or_b32 v30, 0xffe, v54, v30
	v_sub_nc_u32_e32 v54, 0x3f1, v58
	v_and_or_b32 v24, 0x1ff, v25, v24
	v_and_or_b32 v55, 0xffe, v59, v55
	v_cmp_ne_u32_e64 s9, v43, v44
	v_or_b32_e32 v43, 0x1000, v30
	v_med3_i32 v54, v54, 0, 13
	v_sub_nc_u32_e32 v59, 0x3f1, v60
	v_cmp_ne_u32_e64 s10, 0, v24
	v_lshrrev_b32_e32 v44, 8, v25
	v_add_nc_u32_e32 v58, 0xfffffc10, v58
	v_lshrrev_b32_e32 v57, v54, v43
	v_med3_i32 v59, v59, 0, 13
	v_cndmask_b32_e64 v24, 0, 1, s10
	v_add_nc_u32_e32 v60, 0xfffffc10, v60
	v_cmp_ne_u32_e64 s19, 0, v30
	v_lshlrev_b32_e32 v54, v54, v57
	v_cmp_ne_u32_e64 s23, 0, v64
	v_and_or_b32 v24, 0xffe, v44, v24
	v_add_nc_u32_e32 v44, 0xfffffc10, v56
	v_add_nc_u32_e32 v56, 0xfffffc10, v69
	v_cmp_ne_u32_e64 s10, v54, v43
	v_or_b32_e32 v43, 0x1000, v55
	v_add_nc_u32_e32 v54, 0xfffffc10, v61
	v_add_nc_u32_e32 v61, 0xfffffc10, v63
	;; [unrolled: 1-line block ×4, first 2 shown]
	v_lshrrev_b32_e32 v67, v59, v43
	v_add_nc_u32_e32 v69, 0xfffffc10, v73
	v_add_nc_u32_e32 v73, 0xfffffc10, v75
	;; [unrolled: 1-line block ×3, first 2 shown]
	v_cndmask_b32_e64 v78, 0, 1, s10
	v_lshlrev_b32_e32 v59, v59, v67
	v_cmp_ne_u32_e64 s25, 0, v39
	v_bfe_u32 v83, v25, 20, 11
	v_lshrrev_b32_e32 v40, 16, v40
	v_or_b32_e32 v57, v57, v78
	v_cmp_ne_u32_e64 s10, v59, v43
	v_add_nc_u32_e32 v59, 0xfffffc10, v82
	v_cndmask_b32_e64 v82, 0, 1, vcc_lo
	v_cndmask_b32_e64 v78, 0, 1, s0
	v_cmp_gt_i32_e32 vcc_lo, 1, v58
	v_cndmask_b32_e64 v43, 0, 1, s10
	v_lshrrev_b32_e32 v42, 16, v42
	v_or_b32_e32 v37, v37, v82
	v_cndmask_b32_e64 v82, 0, 1, s2
	v_or_b32_e32 v78, v79, v78
	v_or_b32_e32 v43, v67, v43
	v_cndmask_b32_e64 v67, 0, 1, s1
	v_cndmask_b32_e64 v79, 0, 1, s3
	v_or_b32_e32 v49, v49, v82
	v_cndmask_b32_e64 v82, 0, 1, s4
	v_lshrrev_b32_e32 v46, 16, v46
	v_or_b32_e32 v67, v80, v67
	v_lshl_or_b32 v80, v58, 12, v30
	v_or_b32_e32 v70, v70, v79
	v_lshl_or_b32 v79, v60, 12, v55
	;; [unrolled: 2-line block ×3, first 2 shown]
	v_cndmask_b32_e32 v57, v80, v57, vcc_lo
	v_cmp_gt_i32_e32 vcc_lo, 1, v60
	v_cndmask_b32_e64 v80, 0, 1, s5
	v_cndmask_b32_e64 v30, 0, 1, s19
	v_cmp_ne_u32_e64 s19, 0, v55
	v_cndmask_b32_e64 v77, 0, 1, s21
	v_cndmask_b32_e32 v43, v79, v43, vcc_lo
	v_cmp_gt_i32_e32 vcc_lo, 1, v54
	v_cndmask_b32_e64 v79, 0, 1, s6
	v_or_b32_e32 v45, v45, v80
	v_lshl_or_b32 v80, v61, 12, v62
	v_cndmask_b32_e64 v55, 0, 1, s19
	v_cndmask_b32_e32 v37, v82, v37, vcc_lo
	v_cmp_gt_i32_e32 vcc_lo, 1, v61
	v_cndmask_b32_e64 v82, 0, 1, s7
	v_or_b32_e32 v51, v51, v79
	v_lshl_or_b32 v79, v63, 12, v64
	v_cmp_ne_u32_e64 s21, 0, v62
	v_cndmask_b32_e32 v78, v80, v78, vcc_lo
	v_cmp_gt_i32_e32 vcc_lo, 1, v63
	v_cndmask_b32_e64 v80, 0, 1, s8
	v_or_b32_e32 v76, v76, v82
	v_lshl_or_b32 v82, v65, 12, v66
	v_cndmask_b32_e64 v62, 0, 1, s21
	v_cndmask_b32_e32 v67, v79, v67, vcc_lo
	v_cmp_gt_i32_e32 vcc_lo, 1, v65
	v_or_b32_e32 v47, v47, v80
	v_lshl_or_b32 v80, v44, 12, v39
	v_cndmask_b32_e64 v79, 0, 1, s9
	v_lshl_or_b32 v30, v30, 9, 0x7c00
	v_cndmask_b32_e32 v49, v82, v49, vcc_lo
	v_cmp_gt_i32_e32 vcc_lo, 1, v44
	v_lshl_or_b32 v82, v56, 12, v41
	v_or_b32_e32 v53, v53, v79
	v_lshl_or_b32 v79, v69, 12, v72
	v_lshl_or_b32 v55, v55, 9, 0x7c00
	v_cndmask_b32_e32 v70, v80, v70, vcc_lo
	v_cmp_gt_i32_e32 vcc_lo, 1, v56
	v_lshl_or_b32 v80, v71, 12, v68
	v_lshl_or_b32 v77, v77, 9, 0x7c00
	v_cndmask_b32_e64 v64, 0, 1, s23
	v_lshl_or_b32 v62, v62, 9, 0x7c00
	v_cndmask_b32_e32 v81, v82, v81, vcc_lo
	v_cmp_gt_i32_e32 vcc_lo, 1, v71
	v_lshl_or_b32 v82, v73, 12, v38
	v_cmp_ne_u32_e64 s23, 0, v66
	v_lshl_or_b32 v64, v64, 9, 0x7c00
	v_cndmask_b32_e64 v39, 0, 1, s25
	v_cndmask_b32_e32 v45, v80, v45, vcc_lo
	v_cmp_gt_i32_e32 vcc_lo, 1, v69
	v_lshl_or_b32 v80, v75, 12, v74
	v_cndmask_b32_e64 v66, 0, 1, s23
	v_cmp_ne_u32_e64 s25, 0, v41
	v_lshl_or_b32 v39, v39, 9, 0x7c00
	v_cndmask_b32_e32 v51, v79, v51, vcc_lo
	v_cmp_gt_i32_e32 vcc_lo, 1, v73
	v_lshl_or_b32 v79, v59, 12, v12
	v_lshl_or_b32 v66, v66, 9, 0x7c00
	v_cndmask_b32_e64 v41, 0, 1, s25
	v_cmp_ne_u32_e64 s25, 0, v72
	v_cndmask_b32_e32 v76, v82, v76, vcc_lo
	v_cmp_gt_i32_e32 vcc_lo, 1, v75
	v_and_b32_e32 v82, 7, v57
	v_lshrrev_b32_e32 v57, 2, v57
	v_cndmask_b32_e64 v72, 0, 1, s25
	v_cmp_ne_u32_e64 s25, 0, v38
	v_cndmask_b32_e32 v47, v80, v47, vcc_lo
	v_cmp_gt_i32_e32 vcc_lo, 1, v59
	v_cmp_eq_u32_e64 s0, 3, v82
	v_and_b32_e32 v80, 7, v37
	v_lshrrev_b32_e32 v37, 2, v37
	v_cndmask_b32_e64 v38, 0, 1, s25
	v_cndmask_b32_e32 v53, v79, v53, vcc_lo
	v_and_b32_e32 v79, 7, v43
	v_cmp_lt_i32_e32 vcc_lo, 5, v82
	v_and_b32_e32 v82, 7, v78
	v_lshrrev_b32_e32 v43, 2, v43
	v_cmp_lt_i32_e64 s3, 5, v80
	v_cmp_lt_i32_e64 s1, 5, v79
	v_cmp_eq_u32_e64 s2, 3, v79
	s_or_b32 vcc_lo, s0, vcc_lo
	v_cmp_eq_u32_e64 s4, 3, v80
	v_and_b32_e32 v79, 7, v67
	v_add_co_ci_u32_e32 v57, vcc_lo, 0, v57, vcc_lo
	s_or_b32 vcc_lo, s2, s1
	v_cmp_lt_i32_e64 s5, 5, v82
	v_cmp_eq_u32_e64 s6, 3, v82
	v_and_b32_e32 v80, 7, v49
	v_add_co_ci_u32_e32 v43, vcc_lo, 0, v43, vcc_lo
	v_lshrrev_b32_e32 v78, 2, v78
	s_or_b32 vcc_lo, s4, s3
	v_cmp_lt_i32_e64 s7, 5, v79
	v_cmp_eq_u32_e64 s8, 3, v79
	v_add_co_ci_u32_e32 v37, vcc_lo, 0, v37, vcc_lo
	v_lshrrev_b32_e32 v67, 2, v67
	s_or_b32 vcc_lo, s6, s5
	v_cmp_lt_i32_e64 s9, 5, v80
	v_cmp_eq_u32_e64 s10, 3, v80
	v_add_co_ci_u32_e32 v78, vcc_lo, 0, v78, vcc_lo
	v_lshrrev_b32_e32 v49, 2, v49
	s_or_b32 vcc_lo, s8, s7
	v_and_b32_e32 v79, 7, v70
	v_add_co_ci_u32_e32 v67, vcc_lo, 0, v67, vcc_lo
	s_or_b32 vcc_lo, s10, s9
	v_and_b32_e32 v80, 7, v81
	v_add_co_ci_u32_e32 v49, vcc_lo, 0, v49, vcc_lo
	v_cmp_gt_i32_e32 vcc_lo, 31, v58
	v_cmp_lt_i32_e64 s11, 5, v79
	v_cmp_eq_u32_e64 s12, 3, v79
	v_lshrrev_b32_e32 v70, 2, v70
	v_cmp_lt_i32_e64 s13, 5, v80
	v_cndmask_b32_e32 v57, 0x7c00, v57, vcc_lo
	v_cmp_gt_i32_e32 vcc_lo, 31, v60
	v_cmp_eq_u32_e64 s14, 3, v80
	v_and_b32_e32 v80, 7, v51
	v_and_b32_e32 v79, 7, v45
	v_lshrrev_b32_e32 v81, 2, v81
	v_cndmask_b32_e32 v43, 0x7c00, v43, vcc_lo
	v_cmp_gt_i32_e32 vcc_lo, 31, v54
	v_cmp_lt_i32_e64 s17, 5, v80
	v_cmp_eq_u32_e64 s18, 3, v80
	v_and_b32_e32 v80, 7, v76
	v_lshrrev_b32_e32 v51, 2, v51
	v_cndmask_b32_e32 v37, 0x7c00, v37, vcc_lo
	v_cmp_gt_i32_e32 vcc_lo, 31, v61
	v_cmp_lt_i32_e64 s15, 5, v79
	v_cmp_eq_u32_e64 s16, 3, v79
	v_cmp_lt_i32_e64 s19, 5, v80
	v_cmp_eq_u32_e64 s20, 3, v80
	v_cndmask_b32_e32 v78, 0x7c00, v78, vcc_lo
	v_cmp_gt_i32_e32 vcc_lo, 31, v63
	v_and_b32_e32 v80, 7, v47
	v_lshrrev_b32_e32 v45, 2, v45
	v_lshrrev_b32_e32 v76, 2, v76
	;; [unrolled: 1-line block ×3, first 2 shown]
	v_cndmask_b32_e32 v67, 0x7c00, v67, vcc_lo
	s_or_b32 vcc_lo, s12, s11
	v_cmp_lt_i32_e64 s21, 5, v80
	v_add_co_ci_u32_e32 v70, vcc_lo, 0, v70, vcc_lo
	v_cmp_gt_i32_e32 vcc_lo, 31, v65
	v_cmp_eq_u32_e64 s22, 3, v80
	v_cmp_ne_u32_e64 s25, 0, v68
	v_lshl_or_b32 v41, v41, 9, 0x7c00
	v_sub_nc_u32_e32 v82, 0x3f1, v83
	v_cndmask_b32_e32 v49, 0x7c00, v49, vcc_lo
	s_or_b32 vcc_lo, s14, s13
	v_cndmask_b32_e64 v68, 0, 1, s25
	v_add_co_ci_u32_e32 v81, vcc_lo, 0, v81, vcc_lo
	s_or_b32 vcc_lo, s18, s17
	v_lshl_or_b32 v72, v72, 9, 0x7c00
	v_add_co_ci_u32_e32 v51, vcc_lo, 0, v51, vcc_lo
	s_or_b32 vcc_lo, s16, s15
	v_lshl_or_b32 v68, v68, 9, 0x7c00
	v_add_co_ci_u32_e32 v45, vcc_lo, 0, v45, vcc_lo
	s_or_b32 vcc_lo, s20, s19
	v_med3_i32 v82, v82, 0, 13
	v_add_co_ci_u32_e32 v76, vcc_lo, 0, v76, vcc_lo
	s_or_b32 vcc_lo, s22, s21
	v_or_b32_e32 v79, 0x1000, v24
	v_add_co_ci_u32_e32 v47, vcc_lo, 0, v47, vcc_lo
	v_cmp_eq_u32_e32 vcc_lo, 0x40f, v58
	v_and_b32_e32 v80, 7, v53
	v_cmp_ne_u32_e64 s25, 0, v74
	v_lshl_or_b32 v38, v38, 9, 0x7c00
	v_mul_f64 v[18:19], v[18:19], s[26:27]
	v_cndmask_b32_e32 v30, v57, v30, vcc_lo
	v_cmp_eq_u32_e32 vcc_lo, 0x40f, v60
	v_lshrrev_b32_e32 v48, 16, v48
	v_cmp_lt_i32_e64 s23, 5, v80
	v_cmp_eq_u32_e64 s24, 3, v80
	v_and_or_b32 v10, 0x8000, v10, v30
	v_cndmask_b32_e32 v43, v43, v55, vcc_lo
	v_cmp_eq_u32_e32 vcc_lo, 0x40f, v54
	v_lshrrev_b32_e32 v80, v82, v79
	v_cndmask_b32_e64 v74, 0, 1, s25
	v_lshrrev_b32_e32 v50, 16, v50
	v_and_or_b32 v8, 0x8000, v8, v43
	v_cndmask_b32_e32 v37, v37, v77, vcc_lo
	v_cmp_eq_u32_e32 vcc_lo, 0x40f, v61
	v_lshlrev_b32_e32 v82, v82, v80
	v_lshl_or_b32 v74, v74, 9, 0x7c00
	v_cvt_f64_f32_e32 v[28:29], v28
	v_and_or_b32 v6, 0x8000, v6, v37
	v_cndmask_b32_e32 v54, v78, v62, vcc_lo
	v_cmp_eq_u32_e32 vcc_lo, 0x40f, v63
	v_lshrrev_b32_e32 v53, 2, v53
	v_lshrrev_b32_e32 v52, 16, v52
	v_and_or_b32 v4, 0x8000, v4, v54
	v_cndmask_b32_e32 v55, v67, v64, vcc_lo
	v_cmp_gt_i32_e32 vcc_lo, 31, v44
	v_and_or_b32 v2, 0x8000, v2, v55
	v_cndmask_b32_e32 v57, 0x7c00, v70, vcc_lo
	v_cmp_eq_u32_e32 vcc_lo, 0x40f, v65
	v_cndmask_b32_e32 v49, v49, v66, vcc_lo
	v_cmp_gt_i32_e32 vcc_lo, 31, v56
	v_and_or_b32 v0, 0x8000, v0, v49
	v_cndmask_b32_e32 v58, 0x7c00, v81, vcc_lo
	v_cmp_gt_i32_e32 vcc_lo, 31, v71
	v_cndmask_b32_e32 v45, 0x7c00, v45, vcc_lo
	v_cmp_gt_i32_e32 vcc_lo, 31, v69
	;; [unrolled: 2-line block ×4, first 2 shown]
	v_cndmask_b32_e32 v47, 0x7c00, v47, vcc_lo
	v_cmp_eq_u32_e32 vcc_lo, 0x40f, v44
	v_cndmask_b32_e32 v39, v57, v39, vcc_lo
	v_cmp_eq_u32_e32 vcc_lo, 0x40f, v56
	v_and_or_b32 v39, 0x8000, v40, v39
	v_cndmask_b32_e32 v30, v58, v41, vcc_lo
	v_cmp_eq_u32_e32 vcc_lo, 0x40f, v71
	v_and_b32_e32 v39, 0xffff, v39
	v_and_or_b32 v30, 0x8000, v42, v30
	v_cndmask_b32_e32 v41, v45, v68, vcc_lo
	v_cmp_eq_u32_e32 vcc_lo, 0x40f, v69
	v_lshl_or_b32 v10, v10, 16, v39
	v_and_b32_e32 v30, 0xffff, v30
	v_and_or_b32 v40, 0x8000, v46, v41
	v_cndmask_b32_e32 v37, v51, v72, vcc_lo
	v_cmp_eq_u32_e32 vcc_lo, 0x40f, v73
	v_lshl_or_b32 v8, v8, 16, v30
	;; [unrolled: 5-line block ×3, first 2 shown]
	v_and_b32_e32 v37, 0xffff, v37
	v_and_or_b32 v38, 0x8000, v50, v38
	v_cndmask_b32_e32 v43, v47, v74, vcc_lo
	v_cmp_ne_u32_e32 vcc_lo, v82, v79
	global_store_dword v[14:15], v10, off
	global_store_dword v[16:17], v8, off
	global_store_dword v[20:21], v6, off
	v_lshl_or_b32 v4, v4, 16, v37
	v_and_b32_e32 v38, 0xffff, v38
	v_add_nc_u32_e32 v8, 0xfffffc10, v83
	v_cndmask_b32_e64 v6, 0, 1, vcc_lo
	s_or_b32 vcc_lo, s24, s23
	v_mul_f64 v[14:15], v[28:29], s[26:27]
	v_lshl_or_b32 v2, v2, 16, v38
	v_add_co_ci_u32_e32 v10, vcc_lo, 0, v53, vcc_lo
	global_store_dword v[22:23], v4, off
	global_store_dword v[26:27], v2, off
	v_and_or_b32 v2, 0x1ff, v19, v18
	v_or_b32_e32 v4, v80, v6
	v_lshl_or_b32 v6, v8, 12, v24
	v_cmp_gt_i32_e32 vcc_lo, 1, v8
	v_bfe_u32 v18, v19, 20, 11
	v_lshrrev_b32_e32 v22, 16, v11
	v_and_or_b32 v41, 0x8000, v52, v43
	v_cndmask_b32_e32 v4, v6, v4, vcc_lo
	v_cmp_ne_u32_e32 vcc_lo, 0, v2
	v_lshrrev_b32_e32 v6, 8, v19
	v_mul_f16_sdwa v23, v36, v22 dst_sel:DWORD dst_unused:UNUSED_PAD src0_sel:WORD_1 src1_sel:DWORD
	v_and_b32_e32 v41, 0xffff, v41
	v_and_b32_e32 v20, 7, v4
	v_cndmask_b32_e64 v2, 0, 1, vcc_lo
	v_add_co_u32 v16, vcc_lo, v26, s31
	v_add_co_ci_u32_e32 v17, vcc_lo, s30, v27, vcc_lo
	v_cmp_gt_i32_e32 vcc_lo, 31, v59
	v_cmp_eq_u32_e64 s0, 3, v20
	v_lshrrev_b32_e32 v4, 2, v4
	v_and_or_b32 v2, 0xffe, v6, v2
	v_sub_nc_u32_e32 v6, 0x3f1, v18
	v_cndmask_b32_e32 v10, 0x7c00, v10, vcc_lo
	v_cmp_ne_u32_e32 vcc_lo, 0, v12
	v_and_or_b32 v14, 0x1ff, v15, v14
	v_or_b32_e32 v21, 0x1000, v2
	v_med3_i32 v6, v6, 0, 13
	v_fmac_f16_e32 v23, v36, v11
	v_cndmask_b32_e64 v12, 0, 1, vcc_lo
	v_cmp_lt_i32_e32 vcc_lo, 5, v20
	v_lshrrev_b32_e32 v26, 8, v15
	v_lshrrev_b32_e32 v20, v6, v21
	v_bfe_u32 v27, v15, 20, 11
	v_lshl_or_b32 v12, v12, 9, 0x7c00
	s_or_b32 vcc_lo, s0, vcc_lo
	v_add_nc_u32_e32 v18, 0xfffffc10, v18
	v_add_co_ci_u32_e32 v4, vcc_lo, 0, v4, vcc_lo
	v_cmp_gt_i32_e32 vcc_lo, 31, v8
	v_lshlrev_b32_e32 v6, v6, v20
	v_mul_f16_sdwa v11, v36, v11 dst_sel:DWORD dst_unused:UNUSED_PAD src0_sel:WORD_1 src1_sel:DWORD
	v_lshl_or_b32 v0, v0, 16, v41
	v_cndmask_b32_e32 v4, 0x7c00, v4, vcc_lo
	v_cmp_ne_u32_e32 vcc_lo, 0, v24
	v_fma_f16 v22, v36, v22, -v11
	global_store_dword v[16:17], v0, off
	v_cndmask_b32_e64 v24, 0, 1, vcc_lo
	v_cmp_ne_u32_e32 vcc_lo, 0, v14
	v_lshl_or_b32 v24, v24, 9, 0x7c00
	v_cndmask_b32_e64 v14, 0, 1, vcc_lo
	v_cmp_ne_u32_e32 vcc_lo, v6, v21
	v_cvt_f32_f16_e32 v21, v23
	v_sub_nc_u32_e32 v23, 0x3f1, v27
	v_and_or_b32 v14, 0xffe, v26, v14
	v_cndmask_b32_e64 v6, 0, 1, vcc_lo
	v_cmp_eq_u32_e32 vcc_lo, 0x40f, v59
	v_med3_i32 v23, v23, 0, 13
	v_lshl_or_b32 v26, v18, 12, v2
	v_or_b32_e32 v28, 0x1000, v14
	v_or_b32_e32 v6, v20, v6
	v_cvt_f64_f32_e32 v[20:21], v21
	v_cndmask_b32_e32 v10, v10, v12, vcc_lo
	v_lshrrev_b32_e32 v12, 16, v13
	v_lshrrev_b32_e32 v13, v23, v28
	v_cmp_gt_i32_e32 vcc_lo, 1, v18
	v_and_or_b32 v10, 0x8000, v12, v10
	v_lshlrev_b32_e32 v23, v23, v13
	v_cndmask_b32_e32 v6, v26, v6, vcc_lo
	v_cmp_eq_u32_e32 vcc_lo, 0x40f, v8
	v_lshrrev_b32_e32 v8, 16, v25
	v_mul_f16_sdwa v26, v35, v9 dst_sel:DWORD dst_unused:UNUSED_PAD src0_sel:WORD_1 src1_sel:DWORD
	v_cmp_ne_u32_e64 s0, v23, v28
	v_and_b32_e32 v12, 7, v6
	v_cndmask_b32_e32 v4, v4, v24, vcc_lo
	v_lshrrev_b32_e32 v6, 2, v6
	v_cmp_lt_i32_e32 vcc_lo, 5, v12
	v_and_or_b32 v4, 0x8000, v8, v4
	v_and_b32_e32 v8, 0xffff, v10
	v_mul_f64 v[10:11], v[20:21], s[26:27]
	v_cndmask_b32_e64 v20, 0, 1, s0
	v_cmp_eq_u32_e64 s0, 3, v12
	v_cvt_f32_f16_e32 v21, v22
	v_add_nc_u32_e32 v22, 0xfffffc10, v27
	v_lshl_or_b32 v0, v4, 16, v8
	v_or_b32_e32 v20, v13, v20
	s_or_b32 vcc_lo, s0, vcc_lo
	v_cvt_f64_f32_e32 v[12:13], v21
	v_add_co_ci_u32_e32 v6, vcc_lo, 0, v6, vcc_lo
	v_cmp_ne_u32_e32 vcc_lo, 0, v2
	v_lshl_or_b32 v21, v22, 12, v14
	v_cndmask_b32_e64 v2, 0, 1, vcc_lo
	v_cmp_gt_i32_e32 vcc_lo, 1, v22
	v_lshl_or_b32 v2, v2, 9, 0x7c00
	v_cndmask_b32_e32 v20, v21, v20, vcc_lo
	v_cmp_gt_i32_e32 vcc_lo, 31, v18
	v_and_or_b32 v8, 0x1ff, v11, v10
	v_lshrrev_b32_e32 v10, 8, v11
	v_lshrrev_b32_e32 v21, 16, v9
	v_cndmask_b32_e32 v4, 0x7c00, v6, vcc_lo
	v_and_b32_e32 v6, 7, v20
	v_add_co_u32 v16, vcc_lo, v16, s31
	v_add_co_ci_u32_e32 v17, vcc_lo, s30, v17, vcc_lo
	v_cmp_lt_i32_e32 vcc_lo, 5, v6
	v_cmp_eq_u32_e64 s0, 3, v6
	v_mul_f64 v[12:13], v[12:13], s[26:27]
	v_lshrrev_b32_e32 v6, 2, v20
	v_cmp_ne_u32_e64 s1, 0, v8
	v_bfe_u32 v20, v11, 20, 11
	s_or_b32 vcc_lo, s0, vcc_lo
	v_mul_f16_sdwa v23, v35, v21 dst_sel:DWORD dst_unused:UNUSED_PAD src0_sel:WORD_1 src1_sel:DWORD
	v_add_co_ci_u32_e32 v6, vcc_lo, 0, v6, vcc_lo
	v_cndmask_b32_e64 v8, 0, 1, s1
	v_cmp_ne_u32_e32 vcc_lo, 0, v14
	v_fmac_f16_e32 v23, v35, v9
	global_store_dword v[16:17], v0, off
	s_mul_i32 s0, s29, 0xfffff794
	v_and_or_b32 v10, 0xffe, v10, v8
	v_sub_nc_u32_e32 v8, 0x3f1, v20
	v_cndmask_b32_e64 v14, 0, 1, vcc_lo
	v_cmp_eq_u32_e32 vcc_lo, 0x40f, v18
	v_cvt_f32_f16_e32 v18, v23
	v_or_b32_e32 v24, 0x1000, v10
	v_med3_i32 v8, v8, 0, 13
	v_lshl_or_b32 v14, v14, 9, 0x7c00
	v_cndmask_b32_e32 v2, v4, v2, vcc_lo
	v_cmp_gt_i32_e32 vcc_lo, 31, v22
	v_and_or_b32 v12, 0x1ff, v13, v12
	v_lshrrev_b32_e32 v23, 16, v19
	v_cvt_f64_f32_e32 v[18:19], v18
	v_add_nc_u32_e32 v20, 0xfffffc10, v20
	v_cndmask_b32_e32 v4, 0x7c00, v6, vcc_lo
	v_lshrrev_b32_e32 v6, v8, v24
	v_cmp_eq_u32_e32 vcc_lo, 0x40f, v22
	v_bfe_u32 v22, v13, 20, 11
	v_lshl_or_b32 v25, v20, 12, v10
	v_and_or_b32 v2, 0x8000, v23, v2
	v_lshlrev_b32_e32 v8, v8, v6
	v_cndmask_b32_e32 v4, v4, v14, vcc_lo
	v_cmp_ne_u32_e32 vcc_lo, 0, v12
	v_lshrrev_b32_e32 v14, 16, v15
	v_lshrrev_b32_e32 v15, 8, v13
	s_sub_i32 s2, s0, s28
	v_and_b32_e32 v2, 0xffff, v2
	v_cndmask_b32_e64 v12, 0, 1, vcc_lo
	v_cmp_ne_u32_e32 vcc_lo, v8, v24
	v_and_or_b32 v4, 0x8000, v14, v4
	v_sub_nc_u32_e32 v14, 0x3f1, v22
	v_lshrrev_b32_e32 v11, 16, v11
	v_and_or_b32 v12, 0xffe, v15, v12
	v_cndmask_b32_e64 v8, 0, 1, vcc_lo
	v_cmp_gt_i32_e32 vcc_lo, 1, v20
	v_med3_i32 v24, v14, 0, 13
	v_mad_u64_u32 v[14:15], null, 0xfffff794, s28, v[16:17]
	v_or_b32_e32 v6, v6, v8
	v_or_b32_e32 v23, 0x1000, v12
	v_mul_f64 v[8:9], v[18:19], s[26:27]
	v_fma_f16 v19, v35, v21, -v26
	v_lshl_or_b32 v2, v4, 16, v2
	v_cndmask_b32_e32 v6, v25, v6, vcc_lo
	v_lshrrev_b32_e32 v18, v24, v23
	v_add_nc_u32_e32 v15, s2, v15
	v_cvt_f32_f16_e32 v16, v19
	v_and_b32_e32 v0, 7, v6
	v_lshlrev_b32_e32 v21, v24, v18
	global_store_dword v[14:15], v2, off
	v_cvt_f64_f32_e32 v[16:17], v16
	v_cmp_lt_i32_e32 vcc_lo, 5, v0
	v_cmp_eq_u32_e64 s0, 3, v0
	v_lshrrev_b32_e32 v0, 2, v6
	v_cmp_ne_u32_e64 s1, v21, v23
	v_add_nc_u32_e32 v6, 0xfffffc10, v22
	v_lshrrev_b32_e32 v22, 16, v7
	s_or_b32 vcc_lo, s0, vcc_lo
	v_add_co_ci_u32_e32 v0, vcc_lo, 0, v0, vcc_lo
	v_cndmask_b32_e64 v4, 0, 1, s1
	v_cmp_ne_u32_e32 vcc_lo, 0, v10
	v_and_or_b32 v8, 0x1ff, v9, v8
	v_bfe_u32 v21, v9, 20, 11
	v_cmp_eq_u32_e64 s1, 0x40f, v20
	v_or_b32_e32 v4, v18, v4
	v_lshl_or_b32 v18, v6, 12, v12
	v_cndmask_b32_e64 v10, 0, 1, vcc_lo
	v_cmp_gt_i32_e32 vcc_lo, 1, v6
	v_mul_f64 v[16:17], v[16:17], s[26:27]
	v_lshl_or_b32 v10, v10, 9, 0x7c00
	v_cndmask_b32_e32 v4, v18, v4, vcc_lo
	v_cmp_gt_i32_e32 vcc_lo, 31, v20
	v_lshrrev_b32_e32 v18, 8, v9
	v_and_b32_e32 v19, 7, v4
	v_cndmask_b32_e32 v0, 0x7c00, v0, vcc_lo
	v_cmp_ne_u32_e32 vcc_lo, 0, v8
	v_lshrrev_b32_e32 v4, 2, v4
	v_cmp_eq_u32_e64 s0, 3, v19
	v_cndmask_b32_e64 v0, v0, v10, s1
	v_cndmask_b32_e64 v8, 0, 1, vcc_lo
	v_cmp_lt_i32_e32 vcc_lo, 5, v19
	v_mul_f16_sdwa v19, v34, v22 dst_sel:DWORD dst_unused:UNUSED_PAD src0_sel:WORD_1 src1_sel:DWORD
	v_and_or_b32 v0, 0x8000, v11, v0
	v_and_or_b32 v8, 0xffe, v18, v8
	v_sub_nc_u32_e32 v18, 0x3f1, v21
	s_or_b32 vcc_lo, s0, vcc_lo
	v_fmac_f16_e32 v19, v34, v7
	v_add_co_ci_u32_e32 v4, vcc_lo, 0, v4, vcc_lo
	v_or_b32_e32 v23, 0x1000, v8
	v_med3_i32 v18, v18, 0, 13
	v_cmp_ne_u32_e32 vcc_lo, 0, v12
	v_cvt_f32_f16_e32 v19, v19
	v_and_or_b32 v16, 0x1ff, v17, v16
	v_add_nc_u32_e32 v21, 0xfffffc10, v21
	v_lshrrev_b32_e32 v10, v18, v23
	v_cndmask_b32_e64 v12, 0, 1, vcc_lo
	v_cmp_gt_i32_e32 vcc_lo, 31, v6
	v_bfe_u32 v24, v17, 20, 11
	v_and_b32_e32 v0, 0xffff, v0
	v_lshlrev_b32_e32 v20, v18, v10
	v_cvt_f64_f32_e32 v[18:19], v19
	v_cndmask_b32_e32 v4, 0x7c00, v4, vcc_lo
	v_lshl_or_b32 v12, v12, 9, 0x7c00
	v_cmp_ne_u32_e32 vcc_lo, v20, v23
	v_lshrrev_b32_e32 v23, 8, v17
	v_cndmask_b32_e64 v20, 0, 1, vcc_lo
	v_cmp_ne_u32_e32 vcc_lo, 0, v16
	v_or_b32_e32 v10, v10, v20
	v_cndmask_b32_e64 v16, 0, 1, vcc_lo
	v_cmp_eq_u32_e32 vcc_lo, 0x40f, v6
	v_lshl_or_b32 v20, v21, 12, v8
	v_lshrrev_b32_e32 v6, 16, v13
	v_and_or_b32 v16, 0xffe, v23, v16
	v_sub_nc_u32_e32 v23, 0x3f1, v24
	v_cndmask_b32_e32 v4, v4, v12, vcc_lo
	v_cmp_gt_i32_e32 vcc_lo, 1, v21
	v_or_b32_e32 v13, 0x1000, v16
	v_and_or_b32 v4, 0x8000, v6, v4
	v_cndmask_b32_e32 v12, v20, v10, vcc_lo
	v_med3_i32 v20, v23, 0, 13
	v_mul_f64 v[10:11], v[18:19], s[26:27]
	v_mul_f16_sdwa v6, v34, v7 dst_sel:DWORD dst_unused:UNUSED_PAD src0_sel:WORD_1 src1_sel:DWORD
	v_lshl_or_b32 v0, v4, 16, v0
	v_and_b32_e32 v7, 7, v12
	v_lshrrev_b32_e32 v18, v20, v13
	v_lshrrev_b32_e32 v4, 2, v12
	v_fma_f16 v2, v34, v22, -v6
	v_add_nc_u32_e32 v19, 0xfffffc10, v24
	v_cmp_lt_i32_e32 vcc_lo, 5, v7
	v_lshlrev_b32_e32 v6, v20, v18
	v_cmp_eq_u32_e64 s0, 3, v7
	v_cvt_f32_f16_e32 v2, v2
	v_lshrrev_b32_e32 v20, 16, v5
	v_cmp_ne_u32_e64 s1, v6, v13
	s_or_b32 vcc_lo, s0, vcc_lo
	v_cvt_f64_f32_e32 v[6:7], v2
	v_add_co_ci_u32_e32 v2, vcc_lo, 0, v4, vcc_lo
	v_cndmask_b32_e64 v12, 0, 1, s1
	v_cmp_ne_u32_e32 vcc_lo, 0, v8
	v_mul_f16_sdwa v22, v33, v20 dst_sel:DWORD dst_unused:UNUSED_PAD src0_sel:WORD_1 src1_sel:DWORD
	v_and_or_b32 v10, 0x1ff, v11, v10
	v_or_b32_e32 v4, v18, v12
	v_lshl_or_b32 v12, v19, 12, v16
	v_cndmask_b32_e64 v8, 0, 1, vcc_lo
	v_cmp_gt_i32_e32 vcc_lo, 1, v19
	v_bfe_u32 v18, v11, 20, 11
	v_fmac_f16_e32 v22, v33, v5
	v_mul_f16_sdwa v5, v33, v5 dst_sel:DWORD dst_unused:UNUSED_PAD src0_sel:WORD_1 src1_sel:DWORD
	v_lshl_or_b32 v8, v8, 9, 0x7c00
	v_cndmask_b32_e32 v4, v12, v4, vcc_lo
	v_cmp_ne_u32_e32 vcc_lo, 0, v10
	v_lshrrev_b32_e32 v12, 8, v11
	v_fma_f16 v5, v33, v20, -v5
	v_and_b32_e32 v13, 7, v4
	v_cndmask_b32_e64 v10, 0, 1, vcc_lo
	v_cmp_gt_i32_e32 vcc_lo, 31, v21
	v_lshrrev_b32_e32 v4, 2, v4
	v_mul_f64 v[6:7], v[6:7], s[26:27]
	v_cmp_eq_u32_e64 s0, 3, v13
	v_and_or_b32 v10, 0xffe, v12, v10
	v_cndmask_b32_e32 v2, 0x7c00, v2, vcc_lo
	v_cmp_lt_i32_e32 vcc_lo, 5, v13
	v_sub_nc_u32_e32 v12, 0x3f1, v18
	v_cvt_f32_f16_e32 v13, v22
	v_or_b32_e32 v23, 0x1000, v10
	v_add_nc_u32_e32 v18, 0xfffffc10, v18
	s_or_b32 vcc_lo, s0, vcc_lo
	v_med3_i32 v12, v12, 0, 13
	v_add_co_ci_u32_e32 v4, vcc_lo, 0, v4, vcc_lo
	v_add_co_u32 v14, vcc_lo, v14, s31
	v_add_co_ci_u32_e32 v15, vcc_lo, s30, v15, vcc_lo
	v_lshrrev_b32_e32 v24, v12, v23
	v_cmp_ne_u32_e32 vcc_lo, 0, v16
	global_store_dword v[14:15], v0, off
	v_lshlrev_b32_e32 v22, v12, v24
	v_cvt_f64_f32_e32 v[12:13], v13
	v_cndmask_b32_e64 v16, 0, 1, vcc_lo
	v_cmp_eq_u32_e32 vcc_lo, 0x40f, v21
	v_and_or_b32 v6, 0x1ff, v7, v6
	v_lshrrev_b32_e32 v21, 16, v9
	v_cndmask_b32_e32 v2, v2, v8, vcc_lo
	v_cmp_gt_i32_e32 vcc_lo, 31, v19
	v_lshl_or_b32 v8, v16, 9, 0x7c00
	v_and_or_b32 v2, 0x8000, v21, v2
	v_cndmask_b32_e32 v4, 0x7c00, v4, vcc_lo
	v_cmp_ne_u32_e32 vcc_lo, v22, v23
	v_bfe_u32 v22, v7, 20, 11
	v_lshrrev_b32_e32 v21, 16, v3
	v_and_b32_e32 v2, 0xffff, v2
	v_cndmask_b32_e64 v16, 0, 1, vcc_lo
	v_cmp_eq_u32_e32 vcc_lo, 0x40f, v19
	v_lshrrev_b32_e32 v19, 8, v7
	v_lshrrev_b32_e32 v7, 16, v7
	v_or_b32_e32 v16, v24, v16
	v_cndmask_b32_e32 v4, v4, v8, vcc_lo
	v_cmp_ne_u32_e32 vcc_lo, 0, v6
	v_mul_f64 v[8:9], v[12:13], s[26:27]
	v_lshl_or_b32 v12, v18, 12, v10
	v_lshrrev_b32_e32 v13, 16, v17
	v_sub_nc_u32_e32 v17, 0x3f1, v22
	v_cndmask_b32_e64 v6, 0, 1, vcc_lo
	v_cmp_gt_i32_e32 vcc_lo, 1, v18
	v_and_or_b32 v4, 0x8000, v13, v4
	v_med3_i32 v13, v17, 0, 13
	v_and_or_b32 v6, 0xffe, v19, v6
	v_cndmask_b32_e32 v12, v12, v16, vcc_lo
	v_lshl_or_b32 v0, v4, 16, v2
	v_add_co_u32 v4, s1, v14, s31
	v_or_b32_e32 v16, 0x1000, v6
	v_and_b32_e32 v17, 7, v12
	v_lshrrev_b32_e32 v14, 2, v12
	v_lshrrev_b32_e32 v19, v13, v16
	v_cmp_lt_i32_e32 vcc_lo, 5, v17
	v_and_or_b32 v8, 0x1ff, v9, v8
	v_cmp_eq_u32_e64 s0, 3, v17
	v_bfe_u32 v17, v9, 20, 11
	v_lshlrev_b32_e32 v2, v13, v19
	v_cvt_f32_f16_e32 v13, v5
	v_add_co_ci_u32_e64 v5, s1, s30, v15, s1
	v_cmp_ne_u32_e64 s1, 0, v8
	v_lshrrev_b32_e32 v15, 8, v9
	v_cvt_f64_f32_e32 v[12:13], v13
	s_or_b32 vcc_lo, s0, vcc_lo
	v_cndmask_b32_e64 v8, 0, 1, s1
	v_cmp_ne_u32_e64 s1, v2, v16
	v_add_nc_u32_e32 v16, 0xfffffc10, v22
	v_add_co_ci_u32_e32 v14, vcc_lo, 0, v14, vcc_lo
	v_and_or_b32 v8, 0xffe, v15, v8
	v_cndmask_b32_e64 v2, 0, 1, s1
	v_sub_nc_u32_e32 v15, 0x3f1, v17
	v_cmp_gt_i32_e32 vcc_lo, 1, v16
	v_mul_f16_sdwa v22, v32, v21 dst_sel:DWORD dst_unused:UNUSED_PAD src0_sel:WORD_1 src1_sel:DWORD
	v_or_b32_e32 v20, 0x1000, v8
	v_or_b32_e32 v2, v19, v2
	v_lshl_or_b32 v19, v16, 12, v6
	v_med3_i32 v15, v15, 0, 13
	v_cmp_eq_u32_e64 s1, 0x40f, v18
	v_fmac_f16_e32 v22, v32, v3
	v_add_nc_u32_e32 v17, 0xfffffc10, v17
	v_cndmask_b32_e32 v2, v19, v2, vcc_lo
	v_cmp_ne_u32_e32 vcc_lo, 0, v10
	v_mul_f64 v[12:13], v[12:13], s[26:27]
	v_lshrrev_b32_e32 v19, v15, v20
	v_mul_f16_sdwa v3, v32, v3 dst_sel:DWORD dst_unused:UNUSED_PAD src0_sel:WORD_1 src1_sel:DWORD
	v_and_b32_e32 v23, 7, v2
	v_cndmask_b32_e64 v10, 0, 1, vcc_lo
	v_cmp_gt_i32_e32 vcc_lo, 31, v18
	v_lshlrev_b32_e32 v15, v15, v19
	v_lshrrev_b32_e32 v2, 2, v2
	v_cmp_eq_u32_e64 s0, 3, v23
	v_lshl_or_b32 v10, v10, 9, 0x7c00
	v_cndmask_b32_e32 v14, 0x7c00, v14, vcc_lo
	v_cmp_lt_i32_e32 vcc_lo, 5, v23
	v_fma_f16 v3, v32, v21, -v3
	v_cndmask_b32_e64 v18, v14, v10, s1
	v_cmp_ne_u32_e64 s1, v15, v20
	v_cvt_f32_f16_e32 v10, v22
	s_or_b32 vcc_lo, s0, vcc_lo
	v_add_co_ci_u32_e32 v2, vcc_lo, 0, v2, vcc_lo
	v_cndmask_b32_e64 v20, 0, 1, s1
	v_cmp_ne_u32_e32 vcc_lo, 0, v6
	v_cvt_f64_f32_e32 v[14:15], v10
	v_and_or_b32 v10, 0x1ff, v13, v12
	v_or_b32_e32 v12, v19, v20
	v_lshl_or_b32 v19, v17, 12, v8
	v_cndmask_b32_e64 v6, 0, 1, vcc_lo
	v_cmp_gt_i32_e32 vcc_lo, 1, v17
	v_lshrrev_b32_e32 v20, 16, v11
	v_lshrrev_b32_e32 v11, 8, v13
	v_lshl_or_b32 v6, v6, 9, 0x7c00
	v_cndmask_b32_e32 v12, v19, v12, vcc_lo
	v_cmp_ne_u32_e32 vcc_lo, 0, v10
	v_bfe_u32 v19, v13, 20, 11
	v_lshrrev_b32_e32 v13, 16, v13
	v_and_b32_e32 v22, 7, v12
	v_cndmask_b32_e64 v10, 0, 1, vcc_lo
	v_cmp_gt_i32_e32 vcc_lo, 31, v16
	v_sub_nc_u32_e32 v24, 0x3f1, v19
	v_cmp_eq_u32_e64 s0, 3, v22
	v_and_or_b32 v23, 0xffe, v11, v10
	v_cndmask_b32_e32 v2, 0x7c00, v2, vcc_lo
	v_cmp_eq_u32_e32 vcc_lo, 0x40f, v16
	v_mul_f64 v[10:11], v[14:15], s[26:27]
	v_med3_i32 v14, v24, 0, 13
	v_and_or_b32 v15, 0x8000, v20, v18
	v_cndmask_b32_e32 v2, v2, v6, vcc_lo
	v_or_b32_e32 v6, 0x1000, v23
	v_cmp_lt_i32_e32 vcc_lo, 5, v22
	v_and_or_b32 v2, 0x8000, v7, v2
	v_lshrrev_b32_e32 v7, 2, v12
	v_lshrrev_b32_e32 v16, v14, v6
	s_or_b32 vcc_lo, s0, vcc_lo
	v_and_b32_e32 v12, 0xffff, v15
	v_lshrrev_b32_e32 v15, 16, v1
	v_add_co_ci_u32_e32 v7, vcc_lo, 0, v7, vcc_lo
	v_lshlrev_b32_e32 v14, v14, v16
	v_cmp_ne_u32_e32 vcc_lo, 0, v8
	v_lshl_or_b32 v12, v2, 16, v12
	v_cvt_f32_f16_e32 v2, v3
	v_mul_f16_sdwa v20, v31, v15 dst_sel:DWORD dst_unused:UNUSED_PAD src0_sel:WORD_1 src1_sel:DWORD
	v_and_or_b32 v10, 0x1ff, v11, v10
	v_cndmask_b32_e64 v8, 0, 1, vcc_lo
	v_cmp_ne_u32_e32 vcc_lo, v14, v6
	v_cvt_f64_f32_e32 v[2:3], v2
	v_add_nc_u32_e32 v14, 0xfffffc10, v19
	v_lshrrev_b32_e32 v18, 8, v11
	v_bfe_u32 v19, v11, 20, 11
	v_cndmask_b32_e64 v6, 0, 1, vcc_lo
	v_cmp_gt_i32_e32 vcc_lo, 31, v17
	v_fmac_f16_e32 v20, v31, v1
	v_mul_f16_sdwa v1, v31, v1 dst_sel:DWORD dst_unused:UNUSED_PAD src0_sel:WORD_1 src1_sel:DWORD
	v_lshrrev_b32_e32 v11, 16, v11
	v_or_b32_e32 v6, v16, v6
	v_cndmask_b32_e32 v7, 0x7c00, v7, vcc_lo
	v_cmp_ne_u32_e32 vcc_lo, 0, v10
	v_lshl_or_b32 v16, v14, 12, v23
	v_cvt_f32_f16_e32 v20, v20
	v_fma_f16 v1, v31, v15, -v1
	v_cndmask_b32_e64 v10, 0, 1, vcc_lo
	v_cmp_gt_i32_e32 vcc_lo, 1, v14
	v_cvt_f32_f16_e32 v1, v1
	v_and_or_b32 v10, 0xffe, v18, v10
	v_sub_nc_u32_e32 v18, 0x3f1, v19
	v_cndmask_b32_e32 v16, v16, v6, vcc_lo
	v_lshl_or_b32 v6, v8, 9, 0x7c00
	v_cmp_eq_u32_e32 vcc_lo, 0x40f, v17
	v_or_b32_e32 v8, 0x1000, v10
	v_med3_i32 v18, v18, 0, 13
	v_and_b32_e32 v21, 7, v16
	v_mul_f64 v[2:3], v[2:3], s[26:27]
	v_cndmask_b32_e32 v17, v7, v6, vcc_lo
	v_cvt_f64_f32_e32 v[6:7], v20
	v_lshrrev_b32_e32 v22, v18, v8
	v_cmp_lt_i32_e32 vcc_lo, 5, v21
	v_cmp_eq_u32_e64 s0, 3, v21
	v_lshrrev_b32_e32 v20, 16, v9
	v_lshrrev_b32_e32 v9, 2, v16
	v_lshlrev_b32_e32 v16, v18, v22
	s_or_b32 vcc_lo, s0, vcc_lo
	v_and_or_b32 v17, 0x8000, v20, v17
	v_add_co_ci_u32_e32 v15, vcc_lo, 0, v9, vcc_lo
	v_cmp_ne_u32_e32 vcc_lo, v16, v8
	v_add_nc_u32_e32 v16, 0xfffffc10, v19
	v_and_b32_e32 v17, 0xffff, v17
	v_cndmask_b32_e64 v8, 0, 1, vcc_lo
	v_cmp_ne_u32_e32 vcc_lo, 0, v23
	v_lshl_or_b32 v21, v16, 12, v10
	v_or_b32_e32 v19, v22, v8
	v_cndmask_b32_e64 v18, 0, 1, vcc_lo
	v_cmp_gt_i32_e32 vcc_lo, 31, v14
	v_cvt_f64_f32_e32 v[8:9], v1
	v_and_or_b32 v22, 0x1ff, v3, v2
	v_mul_f64 v[1:2], v[6:7], s[26:27]
	v_lshl_or_b32 v18, v18, 9, 0x7c00
	v_cndmask_b32_e32 v15, 0x7c00, v15, vcc_lo
	v_add_co_u32 v6, vcc_lo, v4, s31
	v_add_co_ci_u32_e32 v7, vcc_lo, s30, v5, vcc_lo
	v_cmp_gt_i32_e32 vcc_lo, 1, v16
	v_cndmask_b32_e32 v19, v21, v19, vcc_lo
	v_cmp_eq_u32_e32 vcc_lo, 0x40f, v14
	v_bfe_u32 v21, v3, 20, 11
	v_cndmask_b32_e32 v14, v15, v18, vcc_lo
	v_cmp_ne_u32_e32 vcc_lo, 0, v22
	v_lshrrev_b32_e32 v18, 8, v3
	v_and_b32_e32 v22, 7, v19
	v_mul_f64 v[8:9], v[8:9], s[26:27]
	v_lshrrev_b32_e32 v19, 2, v19
	v_cndmask_b32_e64 v15, 0, 1, vcc_lo
	v_and_or_b32 v13, 0x8000, v13, v14
	v_cmp_lt_i32_e32 vcc_lo, 5, v22
	v_cmp_eq_u32_e64 s0, 3, v22
	v_and_or_b32 v1, 0x1ff, v2, v1
	v_and_or_b32 v15, 0xffe, v18, v15
	v_sub_nc_u32_e32 v18, 0x3f1, v21
	v_lshrrev_b32_e32 v22, 8, v2
	s_or_b32 vcc_lo, s0, vcc_lo
	v_bfe_u32 v23, v2, 20, 11
	v_or_b32_e32 v14, 0x1000, v15
	v_med3_i32 v18, v18, 0, 13
	v_add_co_ci_u32_e32 v19, vcc_lo, 0, v19, vcc_lo
	v_cmp_ne_u32_e32 vcc_lo, 0, v1
	v_lshrrev_b32_e32 v3, 16, v3
	v_lshrrev_b32_e32 v20, v18, v14
	;; [unrolled: 1-line block ×3, first 2 shown]
	v_lshl_or_b32 v13, v13, 16, v17
	v_cndmask_b32_e64 v1, 0, 1, vcc_lo
	v_cmp_ne_u32_e32 vcc_lo, 0, v10
	v_lshlrev_b32_e32 v18, v18, v20
	v_and_or_b32 v8, 0x1ff, v9, v8
	v_lshrrev_b32_e32 v24, 8, v9
	v_and_or_b32 v1, 0xffe, v22, v1
	v_cndmask_b32_e64 v10, 0, 1, vcc_lo
	v_cmp_ne_u32_e32 vcc_lo, v18, v14
	v_sub_nc_u32_e32 v22, 0x3f1, v23
	v_add_nc_u32_e32 v18, 0xfffffc10, v21
	v_or_b32_e32 v21, 0x1000, v1
	v_bfe_u32 v25, v9, 20, 11
	v_cndmask_b32_e64 v14, 0, 1, vcc_lo
	v_cmp_gt_i32_e32 vcc_lo, 31, v16
	v_med3_i32 v22, v22, 0, 13
	v_lshl_or_b32 v10, v10, 9, 0x7c00
	v_lshrrev_b32_e32 v9, 16, v9
	v_or_b32_e32 v14, v20, v14
	v_cndmask_b32_e32 v19, 0x7c00, v19, vcc_lo
	v_cmp_ne_u32_e32 vcc_lo, 0, v8
	v_lshl_or_b32 v20, v18, 12, v15
	v_lshrrev_b32_e32 v26, v22, v21
	v_cndmask_b32_e64 v8, 0, 1, vcc_lo
	v_cmp_gt_i32_e32 vcc_lo, 1, v18
	v_and_or_b32 v8, 0xffe, v24, v8
	v_sub_nc_u32_e32 v24, 0x3f1, v25
	v_cndmask_b32_e32 v14, v20, v14, vcc_lo
	v_lshlrev_b32_e32 v20, v22, v26
	v_cmp_eq_u32_e32 vcc_lo, 0x40f, v16
	v_or_b32_e32 v22, 0x1000, v8
	v_med3_i32 v24, v24, 0, 13
	v_and_b32_e32 v27, 7, v14
	v_lshrrev_b32_e32 v14, 2, v14
	v_cndmask_b32_e32 v10, v19, v10, vcc_lo
	v_cmp_ne_u32_e32 vcc_lo, v20, v21
	v_add_nc_u32_e32 v19, 0xfffffc10, v23
	v_lshrrev_b32_e32 v20, v24, v22
	v_cmp_eq_u32_e64 s0, 3, v27
	v_and_or_b32 v10, 0x8000, v11, v10
	v_cndmask_b32_e64 v16, 0, 1, vcc_lo
	v_lshl_or_b32 v21, v19, 12, v1
	v_lshlrev_b32_e32 v23, v24, v20
	v_cmp_gt_i32_e64 s1, 1, v19
	v_cmp_lt_i32_e32 vcc_lo, 5, v27
	v_or_b32_e32 v16, v26, v16
	v_and_b32_e32 v10, 0xffff, v10
	s_or_b32 vcc_lo, s0, vcc_lo
	v_cndmask_b32_e64 v16, v21, v16, s1
	v_cmp_ne_u32_e64 s1, v23, v22
	v_add_nc_u32_e32 v22, 0xfffffc10, v25
	v_add_co_ci_u32_e32 v14, vcc_lo, 0, v14, vcc_lo
	v_and_b32_e32 v23, 7, v16
	v_cndmask_b32_e64 v21, 0, 1, s1
	v_cmp_ne_u32_e32 vcc_lo, 0, v15
	v_cmp_gt_i32_e64 s0, 1, v22
	v_lshrrev_b32_e32 v16, 2, v16
	v_cmp_gt_i32_e64 s1, 31, v18
	v_or_b32_e32 v20, v20, v21
	v_lshl_or_b32 v21, v22, 12, v8
	v_cndmask_b32_e64 v15, 0, 1, vcc_lo
	v_cmp_lt_i32_e32 vcc_lo, 5, v23
	v_cndmask_b32_e64 v14, 0x7c00, v14, s1
	v_cmp_eq_u32_e64 s1, 0x40f, v18
	v_cndmask_b32_e64 v11, v21, v20, s0
	v_cmp_eq_u32_e64 s0, 3, v23
	v_lshl_or_b32 v15, v15, 9, 0x7c00
	v_and_b32_e32 v20, 7, v11
	s_or_b32 vcc_lo, s0, vcc_lo
	v_lshrrev_b32_e32 v11, 2, v11
	v_add_co_ci_u32_e32 v16, vcc_lo, 0, v16, vcc_lo
	v_cmp_ne_u32_e32 vcc_lo, 0, v1
	v_cmp_eq_u32_e64 s0, 3, v20
	v_cndmask_b32_e64 v14, v14, v15, s1
	v_cmp_gt_i32_e64 s1, 31, v19
	v_cndmask_b32_e64 v1, 0, 1, vcc_lo
	v_cmp_lt_i32_e32 vcc_lo, 5, v20
	v_and_or_b32 v3, 0x8000, v3, v14
	v_cndmask_b32_e64 v15, 0x7c00, v16, s1
	v_lshl_or_b32 v1, v1, 9, 0x7c00
	s_or_b32 vcc_lo, s0, vcc_lo
	v_lshl_or_b32 v3, v3, 16, v10
	v_add_co_ci_u32_e32 v11, vcc_lo, 0, v11, vcc_lo
	v_cmp_ne_u32_e32 vcc_lo, 0, v8
	v_cndmask_b32_e64 v8, 0, 1, vcc_lo
	v_cmp_eq_u32_e32 vcc_lo, 0x40f, v19
	v_lshl_or_b32 v8, v8, 9, 0x7c00
	v_cndmask_b32_e32 v1, v15, v1, vcc_lo
	v_cmp_gt_i32_e32 vcc_lo, 31, v22
	v_and_or_b32 v14, 0x8000, v2, v1
	v_cndmask_b32_e32 v11, 0x7c00, v11, vcc_lo
	v_cmp_eq_u32_e32 vcc_lo, 0x40f, v22
	v_cndmask_b32_e32 v8, v11, v8, vcc_lo
	v_add_co_u32 v1, vcc_lo, v6, s31
	v_add_co_ci_u32_e32 v2, vcc_lo, s30, v7, vcc_lo
	v_and_or_b32 v10, 0x8000, v9, v8
	v_and_b32_e32 v11, 0xffff, v14
	v_add_co_u32 v8, vcc_lo, v1, s31
	v_add_co_ci_u32_e32 v9, vcc_lo, s30, v2, vcc_lo
	v_lshl_or_b32 v14, v10, 16, v11
	v_add_co_u32 v10, vcc_lo, v8, s31
	v_add_co_ci_u32_e32 v11, vcc_lo, s30, v9, vcc_lo
	global_store_dword v[4:5], v0, off
	global_store_dword v[6:7], v12, off
	;; [unrolled: 1-line block ×5, first 2 shown]
.LBB0_2:
	s_endpgm
	.section	.rodata,"a",@progbits
	.p2align	6, 0x0
	.amdhsa_kernel bluestein_single_back_len686_dim1_half_op_CI_CI
		.amdhsa_group_segment_fixed_size 2744
		.amdhsa_private_segment_fixed_size 0
		.amdhsa_kernarg_size 104
		.amdhsa_user_sgpr_count 6
		.amdhsa_user_sgpr_private_segment_buffer 1
		.amdhsa_user_sgpr_dispatch_ptr 0
		.amdhsa_user_sgpr_queue_ptr 0
		.amdhsa_user_sgpr_kernarg_segment_ptr 1
		.amdhsa_user_sgpr_dispatch_id 0
		.amdhsa_user_sgpr_flat_scratch_init 0
		.amdhsa_user_sgpr_private_segment_size 0
		.amdhsa_wavefront_size32 1
		.amdhsa_uses_dynamic_stack 0
		.amdhsa_system_sgpr_private_segment_wavefront_offset 0
		.amdhsa_system_sgpr_workgroup_id_x 1
		.amdhsa_system_sgpr_workgroup_id_y 0
		.amdhsa_system_sgpr_workgroup_id_z 0
		.amdhsa_system_sgpr_workgroup_info 0
		.amdhsa_system_vgpr_workitem_id 0
		.amdhsa_next_free_vgpr 91
		.amdhsa_next_free_sgpr 32
		.amdhsa_reserve_vcc 1
		.amdhsa_reserve_flat_scratch 0
		.amdhsa_float_round_mode_32 0
		.amdhsa_float_round_mode_16_64 0
		.amdhsa_float_denorm_mode_32 3
		.amdhsa_float_denorm_mode_16_64 3
		.amdhsa_dx10_clamp 1
		.amdhsa_ieee_mode 1
		.amdhsa_fp16_overflow 0
		.amdhsa_workgroup_processor_mode 1
		.amdhsa_memory_ordered 1
		.amdhsa_forward_progress 0
		.amdhsa_shared_vgpr_count 0
		.amdhsa_exception_fp_ieee_invalid_op 0
		.amdhsa_exception_fp_denorm_src 0
		.amdhsa_exception_fp_ieee_div_zero 0
		.amdhsa_exception_fp_ieee_overflow 0
		.amdhsa_exception_fp_ieee_underflow 0
		.amdhsa_exception_fp_ieee_inexact 0
		.amdhsa_exception_int_div_zero 0
	.end_amdhsa_kernel
	.text
.Lfunc_end0:
	.size	bluestein_single_back_len686_dim1_half_op_CI_CI, .Lfunc_end0-bluestein_single_back_len686_dim1_half_op_CI_CI
                                        ; -- End function
	.section	.AMDGPU.csdata,"",@progbits
; Kernel info:
; codeLenInByte = 20352
; NumSgprs: 34
; NumVgprs: 91
; ScratchSize: 0
; MemoryBound: 0
; FloatMode: 240
; IeeeMode: 1
; LDSByteSize: 2744 bytes/workgroup (compile time only)
; SGPRBlocks: 4
; VGPRBlocks: 11
; NumSGPRsForWavesPerEU: 34
; NumVGPRsForWavesPerEU: 91
; Occupancy: 10
; WaveLimiterHint : 1
; COMPUTE_PGM_RSRC2:SCRATCH_EN: 0
; COMPUTE_PGM_RSRC2:USER_SGPR: 6
; COMPUTE_PGM_RSRC2:TRAP_HANDLER: 0
; COMPUTE_PGM_RSRC2:TGID_X_EN: 1
; COMPUTE_PGM_RSRC2:TGID_Y_EN: 0
; COMPUTE_PGM_RSRC2:TGID_Z_EN: 0
; COMPUTE_PGM_RSRC2:TIDIG_COMP_CNT: 0
	.text
	.p2alignl 6, 3214868480
	.fill 48, 4, 3214868480
	.type	__hip_cuid_dd976968dc605b83,@object ; @__hip_cuid_dd976968dc605b83
	.section	.bss,"aw",@nobits
	.globl	__hip_cuid_dd976968dc605b83
__hip_cuid_dd976968dc605b83:
	.byte	0                               ; 0x0
	.size	__hip_cuid_dd976968dc605b83, 1

	.ident	"AMD clang version 19.0.0git (https://github.com/RadeonOpenCompute/llvm-project roc-6.4.0 25133 c7fe45cf4b819c5991fe208aaa96edf142730f1d)"
	.section	".note.GNU-stack","",@progbits
	.addrsig
	.addrsig_sym __hip_cuid_dd976968dc605b83
	.amdgpu_metadata
---
amdhsa.kernels:
  - .args:
      - .actual_access:  read_only
        .address_space:  global
        .offset:         0
        .size:           8
        .value_kind:     global_buffer
      - .actual_access:  read_only
        .address_space:  global
        .offset:         8
        .size:           8
        .value_kind:     global_buffer
      - .actual_access:  read_only
        .address_space:  global
        .offset:         16
        .size:           8
        .value_kind:     global_buffer
      - .actual_access:  read_only
        .address_space:  global
        .offset:         24
        .size:           8
        .value_kind:     global_buffer
      - .actual_access:  read_only
        .address_space:  global
        .offset:         32
        .size:           8
        .value_kind:     global_buffer
      - .offset:         40
        .size:           8
        .value_kind:     by_value
      - .address_space:  global
        .offset:         48
        .size:           8
        .value_kind:     global_buffer
      - .address_space:  global
        .offset:         56
        .size:           8
        .value_kind:     global_buffer
      - .address_space:  global
        .offset:         64
        .size:           8
        .value_kind:     global_buffer
      - .address_space:  global
        .offset:         72
        .size:           8
        .value_kind:     global_buffer
      - .offset:         80
        .size:           4
        .value_kind:     by_value
      - .address_space:  global
        .offset:         88
        .size:           8
        .value_kind:     global_buffer
      - .address_space:  global
        .offset:         96
        .size:           8
        .value_kind:     global_buffer
    .group_segment_fixed_size: 2744
    .kernarg_segment_align: 8
    .kernarg_segment_size: 104
    .language:       OpenCL C
    .language_version:
      - 2
      - 0
    .max_flat_workgroup_size: 49
    .name:           bluestein_single_back_len686_dim1_half_op_CI_CI
    .private_segment_fixed_size: 0
    .sgpr_count:     34
    .sgpr_spill_count: 0
    .symbol:         bluestein_single_back_len686_dim1_half_op_CI_CI.kd
    .uniform_work_group_size: 1
    .uses_dynamic_stack: false
    .vgpr_count:     91
    .vgpr_spill_count: 0
    .wavefront_size: 32
    .workgroup_processor_mode: 1
amdhsa.target:   amdgcn-amd-amdhsa--gfx1030
amdhsa.version:
  - 1
  - 2
...

	.end_amdgpu_metadata
